;; amdgpu-corpus repo=ROCm/rocFFT kind=compiled arch=gfx1100 opt=O3
	.text
	.amdgcn_target "amdgcn-amd-amdhsa--gfx1100"
	.amdhsa_code_object_version 6
	.protected	bluestein_single_back_len1428_dim1_dp_op_CI_CI ; -- Begin function bluestein_single_back_len1428_dim1_dp_op_CI_CI
	.globl	bluestein_single_back_len1428_dim1_dp_op_CI_CI
	.p2align	8
	.type	bluestein_single_back_len1428_dim1_dp_op_CI_CI,@function
bluestein_single_back_len1428_dim1_dp_op_CI_CI: ; @bluestein_single_back_len1428_dim1_dp_op_CI_CI
; %bb.0:
	s_load_b128 s[4:7], s[0:1], 0x28
	v_mul_u32_u24_e32 v1, 0x227, v0
	s_mov_b32 s2, exec_lo
	v_mov_b32_e32 v4, 0
	s_delay_alu instid0(VALU_DEP_2) | instskip(NEXT) | instid1(VALU_DEP_1)
	v_lshrrev_b32_e32 v1, 16, v1
	v_add_nc_u32_e32 v3, s15, v1
	s_delay_alu instid0(VALU_DEP_1)
	v_mov_b32_e32 v2, v3
	scratch_store_b64 off, v[2:3], off      ; 8-byte Folded Spill
	s_waitcnt lgkmcnt(0)
	v_cmpx_gt_u64_e64 s[4:5], v[3:4]
	s_cbranch_execz .LBB0_23
; %bb.1:
	s_clause 0x1
	s_load_b64 s[12:13], s[0:1], 0x0
	s_load_b64 s[14:15], s[0:1], 0x38
	v_mul_lo_u16 v1, 0x77, v1
	s_delay_alu instid0(VALU_DEP_1) | instskip(NEXT) | instid1(VALU_DEP_1)
	v_sub_nc_u16 v0, v0, v1
	v_and_b32_e32 v212, 0xffff, v0
	v_cmp_gt_u16_e32 vcc_lo, 0x54, v0
	s_delay_alu instid0(VALU_DEP_2)
	v_lshlrev_b32_e32 v255, 4, v212
	s_and_saveexec_b32 s3, vcc_lo
	s_cbranch_execz .LBB0_3
; %bb.2:
	s_load_b64 s[4:5], s[0:1], 0x18
	s_waitcnt lgkmcnt(0)
	v_add_co_u32 v18, s2, s12, v255
	s_delay_alu instid0(VALU_DEP_1) | instskip(NEXT) | instid1(VALU_DEP_2)
	v_add_co_ci_u32_e64 v19, null, s13, 0, s2
	v_add_co_u32 v24, s2, 0x1000, v18
	s_delay_alu instid0(VALU_DEP_1) | instskip(SKIP_1) | instid1(VALU_DEP_1)
	v_add_co_ci_u32_e64 v25, s2, 0, v19, s2
	v_add_co_u32 v38, s2, 0x2000, v18
	v_add_co_ci_u32_e64 v39, s2, 0, v19, s2
	v_add_co_u32 v48, s2, 0x3000, v18
	s_delay_alu instid0(VALU_DEP_1)
	v_add_co_ci_u32_e64 v49, s2, 0, v19, s2
	v_add_co_u32 v120, s2, 0x4000, v18
	s_load_b128 s[8:11], s[4:5], 0x0
	s_clause 0x3
	global_load_b128 v[0:3], v255, s[12:13]
	global_load_b128 v[4:7], v255, s[12:13] offset:1344
	global_load_b128 v[8:11], v255, s[12:13] offset:2688
	;; [unrolled: 1-line block ×3, first 2 shown]
	scratch_load_b64 v[16:17], off, off     ; 8-byte Folded Reload
	v_add_co_ci_u32_e64 v121, s2, 0, v19, s2
	v_add_co_u32 v128, s2, 0x5000, v18
	s_delay_alu instid0(VALU_DEP_1) | instskip(SKIP_4) | instid1(SALU_CYCLE_1)
	v_add_co_ci_u32_e64 v129, s2, 0, v19, s2
	s_waitcnt lgkmcnt(0)
	v_mad_u64_u32 v[40:41], null, s8, v212, 0
	s_mul_i32 s4, s9, 0x540
	s_mul_hi_u32 s5, s8, 0x540
	s_add_i32 s5, s5, s4
	s_waitcnt vmcnt(0)
	s_delay_alu instid0(VALU_DEP_1) | instskip(NEXT) | instid1(VALU_DEP_1)
	v_mov_b32_e32 v17, v41
	v_mad_u64_u32 v[41:42], null, s9, v212, v[17:18]
	s_delay_alu instid0(VALU_DEP_1) | instskip(SKIP_1) | instid1(VALU_DEP_1)
	v_lshlrev_b64 v[40:41], 4, v[40:41]
	v_mov_b32_e32 v20, v16
	v_mad_u64_u32 v[36:37], null, s10, v20, 0
	s_delay_alu instid0(VALU_DEP_1) | instskip(NEXT) | instid1(VALU_DEP_1)
	v_mov_b32_e32 v16, v37
	v_mad_u64_u32 v[26:27], null, s11, v20, v[16:17]
	s_clause 0x1
	global_load_b128 v[16:19], v[24:25], off offset:1280
	global_load_b128 v[20:23], v[24:25], off offset:2624
	v_mov_b32_e32 v37, v26
	s_clause 0x2
	global_load_b128 v[24:27], v[24:25], off offset:3968
	global_load_b128 v[28:31], v[38:39], off offset:1216
	;; [unrolled: 1-line block ×3, first 2 shown]
	v_lshlrev_b64 v[42:43], 4, v[36:37]
	global_load_b128 v[36:39], v[38:39], off offset:3904
	v_add_co_u32 v42, s2, s6, v42
	s_delay_alu instid0(VALU_DEP_1) | instskip(SKIP_1) | instid1(VALU_DEP_2)
	v_add_co_ci_u32_e64 v43, s2, s7, v43, s2
	s_mul_i32 s6, s8, 0x540
	v_add_co_u32 v60, s2, v42, v40
	s_delay_alu instid0(VALU_DEP_1) | instskip(SKIP_4) | instid1(VALU_DEP_1)
	v_add_co_ci_u32_e64 v61, s2, v43, v41, s2
	s_clause 0x1
	global_load_b128 v[40:43], v[48:49], off offset:1152
	global_load_b128 v[44:47], v[48:49], off offset:2496
	v_add_co_u32 v64, s2, v60, s6
	v_add_co_ci_u32_e64 v65, s2, s5, v61, s2
	global_load_b128 v[48:51], v[48:49], off offset:3840
	v_add_co_u32 v68, s2, v64, s6
	s_delay_alu instid0(VALU_DEP_1) | instskip(SKIP_4) | instid1(VALU_DEP_1)
	v_add_co_ci_u32_e64 v69, s2, s5, v65, s2
	s_clause 0x1
	global_load_b128 v[52:55], v[120:121], off offset:1088
	global_load_b128 v[56:59], v[120:121], off offset:2432
	v_add_co_u32 v72, s2, v68, s6
	v_add_co_ci_u32_e64 v73, s2, s5, v69, s2
	s_clause 0x1
	global_load_b128 v[60:63], v[60:61], off
	global_load_b128 v[64:67], v[64:65], off
	v_add_co_u32 v76, s2, v72, s6
	s_delay_alu instid0(VALU_DEP_1) | instskip(SKIP_4) | instid1(VALU_DEP_1)
	v_add_co_ci_u32_e64 v77, s2, s5, v73, s2
	s_clause 0x1
	global_load_b128 v[68:71], v[68:69], off
	global_load_b128 v[72:75], v[72:73], off
	v_add_co_u32 v80, s2, v76, s6
	v_add_co_ci_u32_e64 v81, s2, s5, v77, s2
	global_load_b128 v[76:79], v[76:77], off
	v_add_co_u32 v84, s2, v80, s6
	s_delay_alu instid0(VALU_DEP_1) | instskip(SKIP_2) | instid1(VALU_DEP_1)
	v_add_co_ci_u32_e64 v85, s2, s5, v81, s2
	global_load_b128 v[80:83], v[80:81], off
	v_add_co_u32 v88, s2, v84, s6
	v_add_co_ci_u32_e64 v89, s2, s5, v85, s2
	global_load_b128 v[84:87], v[84:85], off
	v_add_co_u32 v92, s2, v88, s6
	s_delay_alu instid0(VALU_DEP_1) | instskip(SKIP_2) | instid1(VALU_DEP_1)
	v_add_co_ci_u32_e64 v93, s2, s5, v89, s2
	;; [unrolled: 7-line block ×5, first 2 shown]
	global_load_b128 v[112:115], v[112:113], off
	v_add_co_u32 v124, s2, v116, s6
	v_add_co_ci_u32_e64 v125, s2, s5, v117, s2
	s_delay_alu instid0(VALU_DEP_2) | instskip(NEXT) | instid1(VALU_DEP_1)
	v_add_co_u32 v132, s2, v124, s6
	v_add_co_ci_u32_e64 v133, s2, s5, v125, s2
	global_load_b128 v[116:119], v[116:117], off
	global_load_b128 v[120:123], v[120:121], off offset:3776
	global_load_b128 v[124:127], v[124:125], off
	global_load_b128 v[128:131], v[128:129], off offset:1024
	global_load_b128 v[132:135], v[132:133], off
	s_waitcnt vmcnt(18)
	v_mul_f64 v[136:137], v[62:63], v[2:3]
	v_mul_f64 v[2:3], v[60:61], v[2:3]
	s_waitcnt vmcnt(17)
	v_mul_f64 v[138:139], v[66:67], v[6:7]
	v_mul_f64 v[6:7], v[64:65], v[6:7]
	;; [unrolled: 3-line block ×17, first 2 shown]
	v_fma_f64 v[58:59], v[60:61], v[0:1], v[136:137]
	v_fma_f64 v[60:61], v[62:63], v[0:1], -v[2:3]
	v_fma_f64 v[0:1], v[64:65], v[4:5], v[138:139]
	v_fma_f64 v[2:3], v[66:67], v[4:5], -v[6:7]
	v_fma_f64 v[4:5], v[68:69], v[8:9], v[140:141]
	v_fma_f64 v[6:7], v[70:71], v[8:9], -v[10:11]
	v_fma_f64 v[8:9], v[72:73], v[12:13], v[142:143]
	v_fma_f64 v[10:11], v[74:75], v[12:13], -v[14:15]
	v_fma_f64 v[12:13], v[76:77], v[16:17], v[144:145]
	v_fma_f64 v[14:15], v[78:79], v[16:17], -v[18:19]
	v_fma_f64 v[16:17], v[80:81], v[20:21], v[146:147]
	v_fma_f64 v[18:19], v[82:83], v[20:21], -v[22:23]
	v_fma_f64 v[20:21], v[84:85], v[24:25], v[148:149]
	v_fma_f64 v[22:23], v[86:87], v[24:25], -v[26:27]
	v_fma_f64 v[24:25], v[88:89], v[28:29], v[150:151]
	v_fma_f64 v[26:27], v[90:91], v[28:29], -v[30:31]
	v_fma_f64 v[28:29], v[92:93], v[32:33], v[152:153]
	v_fma_f64 v[30:31], v[94:95], v[32:33], -v[34:35]
	v_fma_f64 v[32:33], v[96:97], v[36:37], v[154:155]
	v_fma_f64 v[34:35], v[98:99], v[36:37], -v[38:39]
	v_fma_f64 v[36:37], v[100:101], v[40:41], v[156:157]
	v_fma_f64 v[38:39], v[102:103], v[40:41], -v[42:43]
	v_fma_f64 v[40:41], v[104:105], v[44:45], v[158:159]
	v_fma_f64 v[42:43], v[106:107], v[44:45], -v[46:47]
	v_fma_f64 v[44:45], v[108:109], v[48:49], v[160:161]
	v_fma_f64 v[46:47], v[110:111], v[48:49], -v[50:51]
	v_fma_f64 v[48:49], v[112:113], v[52:53], v[162:163]
	v_fma_f64 v[50:51], v[114:115], v[52:53], -v[54:55]
	v_fma_f64 v[52:53], v[116:117], v[56:57], v[164:165]
	v_fma_f64 v[54:55], v[118:119], v[56:57], -v[166:167]
	v_fma_f64 v[62:63], v[124:125], v[120:121], v[168:169]
	v_fma_f64 v[64:65], v[126:127], v[120:121], -v[122:123]
	v_fma_f64 v[66:67], v[132:133], v[128:129], v[170:171]
	v_fma_f64 v[68:69], v[134:135], v[128:129], -v[130:131]
	ds_store_b128 v255, v[58:61]
	ds_store_b128 v255, v[0:3] offset:1344
	ds_store_b128 v255, v[4:7] offset:2688
	;; [unrolled: 1-line block ×16, first 2 shown]
.LBB0_3:
	s_or_b32 exec_lo, exec_lo, s3
	s_clause 0x1
	s_load_b64 s[4:5], s[0:1], 0x20
	s_load_b64 s[2:3], s[0:1], 0x8
	s_waitcnt lgkmcnt(0)
	s_waitcnt_vscnt null, 0x0
	s_barrier
	buffer_gl0_inv
                                        ; implicit-def: $vgpr12_vgpr13
                                        ; implicit-def: $vgpr28_vgpr29
                                        ; implicit-def: $vgpr32_vgpr33
                                        ; implicit-def: $vgpr36_vgpr37
                                        ; implicit-def: $vgpr40_vgpr41
                                        ; implicit-def: $vgpr44_vgpr45
                                        ; implicit-def: $vgpr48_vgpr49
                                        ; implicit-def: $vgpr52_vgpr53
                                        ; implicit-def: $vgpr64_vgpr65
                                        ; implicit-def: $vgpr68_vgpr69
                                        ; implicit-def: $vgpr72_vgpr73
                                        ; implicit-def: $vgpr76_vgpr77
                                        ; implicit-def: $vgpr80_vgpr81
                                        ; implicit-def: $vgpr56_vgpr57
                                        ; implicit-def: $vgpr24_vgpr25
                                        ; implicit-def: $vgpr20_vgpr21
                                        ; implicit-def: $vgpr16_vgpr17
	s_and_saveexec_b32 s0, vcc_lo
	s_cbranch_execz .LBB0_5
; %bb.4:
	ds_load_b128 v[12:15], v255
	ds_load_b128 v[28:31], v255 offset:1344
	ds_load_b128 v[32:35], v255 offset:2688
	;; [unrolled: 1-line block ×16, first 2 shown]
.LBB0_5:
	s_or_b32 exec_lo, exec_lo, s0
	s_waitcnt lgkmcnt(0)
	v_add_f64 v[162:163], v[30:31], -v[18:19]
	v_add_f64 v[102:103], v[34:35], -v[22:23]
	s_mov_b32 s0, 0x5d8e7cdc
	s_mov_b32 s10, 0x2a9d6da3
	;; [unrolled: 1-line block ×4, first 2 shown]
	v_add_f64 v[156:157], v[28:29], v[16:17]
	v_add_f64 v[100:101], v[32:33], -v[20:21]
	s_mov_b32 s6, 0x370991
	s_mov_b32 s7, 0x3fedd6d0
	v_add_f64 v[88:89], v[32:33], v[20:21]
	s_mov_b32 s8, 0x75d4884
	s_mov_b32 s9, 0x3fe7a5f6
	v_add_f64 v[182:183], v[28:29], -v[16:17]
	v_add_f64 v[178:179], v[30:31], v[18:19]
	v_add_f64 v[96:97], v[34:35], v[22:23]
	v_add_f64 v[114:115], v[38:39], -v[26:27]
	s_mov_b32 s18, 0x7c9e640b
	s_mov_b32 s19, 0xbfeca52d
	v_add_f64 v[92:93], v[36:37], v[24:25]
	s_mov_b32 s16, 0x2b2883cd
	s_mov_b32 s54, 0x6c9a05f6
	;; [unrolled: 1-line block ×4, first 2 shown]
	v_add_f64 v[112:113], v[36:37], -v[24:25]
	v_add_f64 v[108:109], v[38:39], v[26:27]
	v_add_f64 v[124:125], v[42:43], -v[58:59]
	s_mov_b32 s22, 0xeb564b22
	s_mov_b32 s23, 0xbfefdd0d
	v_add_f64 v[104:105], v[40:41], v[56:57]
	s_mov_b32 s20, 0x3259b75e
	s_mov_b32 s21, 0x3fb79ee6
	v_add_f64 v[126:127], v[40:41], -v[56:57]
	v_add_f64 v[120:121], v[42:43], v[58:59]
	v_add_f64 v[136:137], v[46:47], -v[82:83]
	s_mov_b32 s26, 0x923c349f
	s_mov_b32 s27, 0xbfeec746
	v_add_f64 v[116:117], v[44:45], v[80:81]
	v_mul_f64 v[0:1], v[162:163], s[0:1]
	v_mul_f64 v[2:3], v[102:103], s[10:11]
	s_mov_b32 s24, 0xc61f0d01
	s_mov_b32 s25, 0xbfd183b1
	v_add_f64 v[142:143], v[44:45], -v[80:81]
	v_add_f64 v[132:133], v[46:47], v[82:83]
	v_add_f64 v[168:169], v[50:51], -v[78:79]
	v_mul_f64 v[4:5], v[100:101], s[10:11]
	v_mul_f64 v[60:61], v[100:101], s[54:55]
	v_add_f64 v[128:129], v[48:49], v[76:77]
	s_mov_b32 s28, 0x6ed5f1bb
	s_mov_b32 s29, 0xbfe348c8
	v_add_f64 v[160:161], v[48:49], -v[76:77]
	v_add_f64 v[144:145], v[50:51], v[78:79]
	v_add_f64 v[172:173], v[54:55], -v[74:75]
	s_mov_b32 s36, 0x4363dd80
	s_mov_b32 s37, 0x3fe0d888
	;; [unrolled: 1-line block ×4, first 2 shown]
	v_add_f64 v[138:139], v[52:53], v[72:73]
	s_mov_b32 s30, 0x910ea3b9
	s_mov_b32 s31, 0xbfeb34fa
	v_add_f64 v[170:171], v[52:53], -v[72:73]
	v_add_f64 v[152:153], v[54:55], v[74:75]
	v_add_f64 v[176:177], v[66:67], -v[70:71]
	s_mov_b32 s38, 0xacd6c6b4
	s_mov_b32 s39, 0xbfc7851a
	v_add_f64 v[148:149], v[64:65], v[68:69]
	s_mov_b32 s34, 0x7faef3
	s_mov_b32 s35, 0xbfef7484
	v_add_f64 v[174:175], v[64:65], -v[68:69]
	v_add_f64 v[164:165], v[66:67], v[70:71]
	v_mul_f64 v[194:195], v[162:163], s[10:11]
	v_mul_f64 v[10:11], v[102:103], s[54:55]
	v_mul_f64 v[196:197], v[182:183], s[10:11]
	s_mov_b32 s51, 0x3feec746
	s_mov_b32 s50, s26
	;; [unrolled: 1-line block ×4, first 2 shown]
	s_clause 0x1
	scratch_store_b64 off, v[2:3], off offset:8
	scratch_store_b64 off, v[0:1], off offset:192
	v_fma_f64 v[0:1], v[156:157], s[6:7], v[0:1]
	v_fma_f64 v[2:3], v[88:89], s[8:9], v[2:3]
	v_mul_f64 v[217:218], v[142:143], s[36:37]
	v_mul_f64 v[215:216], v[168:169], s[50:51]
	scratch_store_b64 off, v[4:5], off offset:48 ; 8-byte Folded Spill
	v_fma_f64 v[4:5], v[96:97], s[8:9], -v[4:5]
	s_mov_b32 s43, 0x3fd71e95
	s_mov_b32 s42, s0
	v_mul_f64 v[198:199], v[162:163], s[18:19]
	v_mul_f64 v[237:238], v[160:161], s[50:51]
	;; [unrolled: 1-line block ×3, first 2 shown]
	s_mov_b32 s47, 0x3fc7851a
	s_mov_b32 s46, s38
	v_mul_f64 v[239:240], v[126:127], s[50:51]
	v_mul_f64 v[223:224], v[112:113], s[46:47]
	s_mov_b32 s49, 0x3fe58eea
	s_mov_b32 s48, s10
	v_mul_f64 v[253:254], v[168:169], s[0:1]
	v_mul_f64 v[235:236], v[136:137], s[48:49]
	;; [unrolled: 1-line block ×21, first 2 shown]
	v_add_f64 v[0:1], v[12:13], v[0:1]
	s_mov_b32 s53, 0x3fe9895b
	s_mov_b32 s52, s54
	v_mul_f64 v[249:250], v[176:177], s[48:49]
	v_mul_f64 v[94:95], v[172:173], s[52:53]
	;; [unrolled: 1-line block ×14, first 2 shown]
	s_mov_b32 s57, 0x3fefdd0d
	s_mov_b32 s56, s22
	v_mul_f64 v[140:141], v[172:173], s[0:1]
	v_mul_f64 v[186:187], v[168:169], s[56:57]
	;; [unrolled: 1-line block ×4, first 2 shown]
	scratch_store_b64 off, v[60:61], off offset:360 ; 8-byte Folded Spill
	v_fma_f64 v[60:61], v[96:97], s[28:29], -v[60:61]
	v_fma_f64 v[62:63], v[88:89], s[34:35], v[213:214]
	scratch_store_b64 off, v[10:11], off offset:272 ; 8-byte Folded Spill
	v_fma_f64 v[10:11], v[88:89], s[28:29], v[10:11]
	v_fma_f64 v[84:85], v[96:97], s[34:35], -v[233:234]
	v_add_f64 v[0:1], v[2:3], v[0:1]
	v_mul_f64 v[2:3], v[182:183], s[0:1]
	v_fma_f64 v[86:87], v[88:89], s[30:31], v[229:230]
	v_fma_f64 v[130:131], v[96:97], s[30:31], -v[90:91]
	scratch_store_b64 off, v[2:3], off offset:224 ; 8-byte Folded Spill
	v_fma_f64 v[2:3], v[178:179], s[6:7], -v[2:3]
	s_delay_alu instid0(VALU_DEP_1) | instskip(NEXT) | instid1(VALU_DEP_1)
	v_add_f64 v[2:3], v[14:15], v[2:3]
	v_add_f64 v[2:3], v[4:5], v[2:3]
	v_mul_f64 v[4:5], v[114:115], s[18:19]
	scratch_store_b64 off, v[4:5], off offset:32 ; 8-byte Folded Spill
	v_fma_f64 v[4:5], v[92:93], s[16:17], v[4:5]
	s_delay_alu instid0(VALU_DEP_1) | instskip(SKIP_3) | instid1(VALU_DEP_1)
	v_add_f64 v[0:1], v[4:5], v[0:1]
	v_mul_f64 v[4:5], v[112:113], s[18:19]
	scratch_store_b64 off, v[4:5], off offset:80 ; 8-byte Folded Spill
	v_fma_f64 v[4:5], v[108:109], s[16:17], -v[4:5]
	v_add_f64 v[2:3], v[4:5], v[2:3]
	v_mul_f64 v[4:5], v[124:125], s[22:23]
	scratch_store_b64 off, v[4:5], off offset:64 ; 8-byte Folded Spill
	v_fma_f64 v[4:5], v[104:105], s[20:21], v[4:5]
	s_delay_alu instid0(VALU_DEP_1) | instskip(SKIP_3) | instid1(VALU_DEP_1)
	v_add_f64 v[0:1], v[4:5], v[0:1]
	v_mul_f64 v[4:5], v[126:127], s[22:23]
	scratch_store_b64 off, v[4:5], off offset:112 ; 8-byte Folded Spill
	v_fma_f64 v[4:5], v[120:121], s[20:21], -v[4:5]
	;; [unrolled: 9-line block ×6, first 2 shown]
	v_add_f64 v[2:3], v[4:5], v[2:3]
	v_fma_f64 v[4:5], v[156:157], s[8:9], v[194:195]
	scratch_store_b128 off, v[0:3], off offset:16 ; 16-byte Folded Spill
	v_mul_f64 v[2:3], v[102:103], s[22:23]
	v_add_f64 v[4:5], v[12:13], v[4:5]
	v_mul_f64 v[0:1], v[100:101], s[22:23]
	s_delay_alu instid0(VALU_DEP_3)
	v_fma_f64 v[6:7], v[88:89], s[20:21], v[2:3]
	scratch_store_b64 off, v[0:1], off offset:256 ; 8-byte Folded Spill
	v_fma_f64 v[8:9], v[96:97], s[20:21], -v[0:1]
	v_mul_f64 v[0:1], v[114:115], s[54:55]
	v_add_f64 v[4:5], v[6:7], v[4:5]
	v_fma_f64 v[6:7], v[178:179], s[8:9], -v[196:197]
	s_delay_alu instid0(VALU_DEP_1) | instskip(NEXT) | instid1(VALU_DEP_1)
	v_add_f64 v[6:7], v[14:15], v[6:7]
	v_add_f64 v[6:7], v[8:9], v[6:7]
	v_fma_f64 v[8:9], v[92:93], s[28:29], v[0:1]
	s_delay_alu instid0(VALU_DEP_1) | instskip(SKIP_3) | instid1(VALU_DEP_1)
	v_add_f64 v[4:5], v[8:9], v[4:5]
	v_mul_f64 v[8:9], v[112:113], s[54:55]
	scratch_store_b64 off, v[8:9], off offset:288 ; 8-byte Folded Spill
	v_fma_f64 v[8:9], v[108:109], s[28:29], -v[8:9]
	v_add_f64 v[6:7], v[8:9], v[6:7]
	v_mul_f64 v[8:9], v[124:125], s[38:39]
	scratch_store_b64 off, v[8:9], off offset:240 ; 8-byte Folded Spill
	v_fma_f64 v[8:9], v[104:105], s[34:35], v[8:9]
	s_delay_alu instid0(VALU_DEP_1) | instskip(SKIP_3) | instid1(VALU_DEP_1)
	v_add_f64 v[4:5], v[8:9], v[4:5]
	v_mul_f64 v[8:9], v[126:127], s[38:39]
	scratch_store_b64 off, v[8:9], off offset:336 ; 8-byte Folded Spill
	v_fma_f64 v[8:9], v[120:121], s[34:35], -v[8:9]
	v_add_f64 v[6:7], v[8:9], v[6:7]
	v_mul_f64 v[8:9], v[136:137], s[36:37]
	scratch_store_b64 off, v[8:9], off offset:296 ; 8-byte Folded Spill
	v_fma_f64 v[8:9], v[116:117], s[30:31], v[8:9]
	s_delay_alu instid0(VALU_DEP_1) | instskip(SKIP_1) | instid1(VALU_DEP_1)
	v_add_f64 v[4:5], v[8:9], v[4:5]
	v_fma_f64 v[8:9], v[132:133], s[30:31], -v[217:218]
	v_add_f64 v[6:7], v[8:9], v[6:7]
	v_fma_f64 v[8:9], v[128:129], s[24:25], v[215:216]
	s_delay_alu instid0(VALU_DEP_1) | instskip(SKIP_1) | instid1(VALU_DEP_1)
	v_add_f64 v[4:5], v[8:9], v[4:5]
	v_fma_f64 v[8:9], v[144:145], s[24:25], -v[237:238]
	v_add_f64 v[6:7], v[8:9], v[6:7]
	v_mul_f64 v[8:9], v[172:173], s[44:45]
	scratch_store_b64 off, v[8:9], off offset:304 ; 8-byte Folded Spill
	v_fma_f64 v[8:9], v[138:139], s[16:17], v[8:9]
	s_delay_alu instid0(VALU_DEP_1) | instskip(SKIP_3) | instid1(VALU_DEP_1)
	v_add_f64 v[4:5], v[8:9], v[4:5]
	v_mul_f64 v[8:9], v[170:171], s[44:45]
	scratch_store_b64 off, v[8:9], off offset:352 ; 8-byte Folded Spill
	v_fma_f64 v[8:9], v[152:153], s[16:17], -v[8:9]
	v_add_f64 v[6:7], v[8:9], v[6:7]
	v_mul_f64 v[8:9], v[176:177], s[42:43]
	scratch_store_b64 off, v[8:9], off offset:312 ; 8-byte Folded Spill
	v_fma_f64 v[8:9], v[148:149], s[6:7], v[8:9]
	s_delay_alu instid0(VALU_DEP_1) | instskip(SKIP_1) | instid1(VALU_DEP_1)
	v_add_f64 v[4:5], v[8:9], v[4:5]
	v_fma_f64 v[8:9], v[164:165], s[6:7], -v[219:220]
	v_add_f64 v[6:7], v[8:9], v[6:7]
	v_fma_f64 v[8:9], v[156:157], s[16:17], v[198:199]
	s_delay_alu instid0(VALU_DEP_1) | instskip(NEXT) | instid1(VALU_DEP_1)
	v_add_f64 v[8:9], v[12:13], v[8:9]
	v_add_f64 v[8:9], v[10:11], v[8:9]
	v_fma_f64 v[10:11], v[178:179], s[16:17], -v[200:201]
	s_delay_alu instid0(VALU_DEP_1) | instskip(NEXT) | instid1(VALU_DEP_1)
	v_add_f64 v[10:11], v[14:15], v[10:11]
	v_add_f64 v[10:11], v[60:61], v[10:11]
	v_mul_f64 v[60:61], v[114:115], s[46:47]
	scratch_store_b64 off, v[60:61], off offset:320 ; 8-byte Folded Spill
	v_fma_f64 v[60:61], v[92:93], s[34:35], v[60:61]
	s_delay_alu instid0(VALU_DEP_1) | instskip(SKIP_1) | instid1(VALU_DEP_1)
	v_add_f64 v[8:9], v[60:61], v[8:9]
	v_fma_f64 v[60:61], v[108:109], s[34:35], -v[223:224]
	v_add_f64 v[10:11], v[60:61], v[10:11]
	v_mul_f64 v[60:61], v[124:125], s[50:51]
	scratch_store_b64 off, v[60:61], off offset:344 ; 8-byte Folded Spill
	v_fma_f64 v[60:61], v[104:105], s[24:25], v[60:61]
	s_waitcnt_vscnt null, 0x0
	s_barrier
	buffer_gl0_inv
	v_add_f64 v[8:9], v[60:61], v[8:9]
	v_fma_f64 v[60:61], v[120:121], s[24:25], -v[239:240]
	s_delay_alu instid0(VALU_DEP_1) | instskip(SKIP_1) | instid1(VALU_DEP_1)
	v_add_f64 v[10:11], v[60:61], v[10:11]
	v_fma_f64 v[60:61], v[116:117], s[8:9], v[235:236]
	v_add_f64 v[8:9], v[60:61], v[8:9]
	v_fma_f64 v[60:61], v[132:133], s[8:9], -v[106:107]
	s_delay_alu instid0(VALU_DEP_1) | instskip(SKIP_1) | instid1(VALU_DEP_1)
	v_add_f64 v[10:11], v[60:61], v[10:11]
	v_fma_f64 v[60:61], v[128:129], s[6:7], v[253:254]
	;; [unrolled: 5-line block ×5, first 2 shown]
	v_add_f64 v[60:61], v[12:13], v[60:61]
	s_delay_alu instid0(VALU_DEP_1) | instskip(SKIP_1) | instid1(VALU_DEP_1)
	v_add_f64 v[60:61], v[62:63], v[60:61]
	v_fma_f64 v[62:63], v[178:179], s[20:21], -v[204:205]
	v_add_f64 v[62:63], v[14:15], v[62:63]
	s_delay_alu instid0(VALU_DEP_1) | instskip(SKIP_1) | instid1(VALU_DEP_1)
	v_add_f64 v[62:63], v[84:85], v[62:63]
	v_fma_f64 v[84:85], v[92:93], s[24:25], v[225:226]
	v_add_f64 v[60:61], v[84:85], v[60:61]
	v_fma_f64 v[84:85], v[108:109], s[24:25], -v[251:252]
	s_delay_alu instid0(VALU_DEP_1) | instskip(SKIP_1) | instid1(VALU_DEP_1)
	v_add_f64 v[62:63], v[84:85], v[62:63]
	v_fma_f64 v[84:85], v[104:105], s[6:7], v[231:232]
	v_add_f64 v[60:61], v[84:85], v[60:61]
	v_fma_f64 v[84:85], v[120:121], s[6:7], -v[118:119]
	;; [unrolled: 5-line block ×6, first 2 shown]
	s_delay_alu instid0(VALU_DEP_1) | instskip(SKIP_1) | instid1(VALU_DEP_1)
	v_add_f64 v[62:63], v[84:85], v[62:63]
	v_fma_f64 v[84:85], v[156:157], s[24:25], v[206:207]
	v_add_f64 v[84:85], v[12:13], v[84:85]
	s_delay_alu instid0(VALU_DEP_1) | instskip(SKIP_1) | instid1(VALU_DEP_1)
	v_add_f64 v[84:85], v[86:87], v[84:85]
	v_fma_f64 v[86:87], v[178:179], s[24:25], -v[208:209]
	v_add_f64 v[86:87], v[14:15], v[86:87]
	s_delay_alu instid0(VALU_DEP_1) | instskip(SKIP_1) | instid1(VALU_DEP_1)
	v_add_f64 v[86:87], v[130:131], v[86:87]
	v_fma_f64 v[130:131], v[92:93], s[8:9], v[245:246]
	v_add_f64 v[84:85], v[130:131], v[84:85]
	v_fma_f64 v[130:131], v[108:109], s[8:9], -v[134:135]
	s_delay_alu instid0(VALU_DEP_1) | instskip(SKIP_1) | instid1(VALU_DEP_1)
	v_add_f64 v[86:87], v[130:131], v[86:87]
	v_fma_f64 v[130:131], v[104:105], s[16:17], v[247:248]
	v_add_f64 v[84:85], v[130:131], v[84:85]
	v_fma_f64 v[130:131], v[120:121], s[16:17], -v[180:181]
	;; [unrolled: 5-line block ×5, first 2 shown]
	s_delay_alu instid0(VALU_DEP_1) | instskip(SKIP_1) | instid1(VALU_DEP_1)
	v_add_f64 v[86:87], v[130:131], v[86:87]
	v_mul_f64 v[130:131], v[176:177], s[54:55]
	v_fma_f64 v[166:167], v[148:149], s[28:29], v[130:131]
	s_delay_alu instid0(VALU_DEP_1) | instskip(SKIP_1) | instid1(VALU_DEP_1)
	v_add_f64 v[84:85], v[166:167], v[84:85]
	v_mul_f64 v[166:167], v[174:175], s[54:55]
	v_fma_f64 v[210:211], v[164:165], s[28:29], -v[166:167]
	s_delay_alu instid0(VALU_DEP_1)
	v_add_f64 v[86:87], v[210:211], v[86:87]
	s_and_saveexec_b32 s33, vcc_lo
	s_cbranch_execz .LBB0_7
; %bb.6:
	v_dual_mov_b32 v211, v3 :: v_dual_mov_b32 v210, v2
	v_dual_mov_b32 v3, v1 :: v_dual_mov_b32 v2, v0
	scratch_load_b64 v[0:1], off, off offset:224 ; 8-byte Folded Reload
	v_add_f64 v[28:29], v[12:13], v[28:29]
	v_add_f64 v[30:31], v[14:15], v[30:31]
	s_delay_alu instid0(VALU_DEP_2) | instskip(NEXT) | instid1(VALU_DEP_2)
	v_add_f64 v[28:29], v[28:29], v[32:33]
	v_add_f64 v[30:31], v[30:31], v[34:35]
	v_mul_f64 v[32:33], v[178:179], s[24:25]
	v_mul_f64 v[34:35], v[156:157], s[24:25]
	s_delay_alu instid0(VALU_DEP_4) | instskip(NEXT) | instid1(VALU_DEP_4)
	v_add_f64 v[28:29], v[28:29], v[36:37]
	v_add_f64 v[30:31], v[30:31], v[38:39]
	v_mul_f64 v[38:39], v[156:157], s[20:21]
	v_add_f64 v[32:33], v[208:209], v[32:33]
	v_add_f64 v[34:35], v[34:35], -v[206:207]
	v_mul_f64 v[36:37], v[178:179], s[20:21]
	v_mul_f64 v[206:207], v[116:117], s[30:31]
	v_mul_f64 v[208:209], v[88:89], s[20:21]
	v_add_f64 v[28:29], v[28:29], v[40:41]
	v_add_f64 v[30:31], v[30:31], v[42:43]
	v_mul_f64 v[40:41], v[178:179], s[16:17]
	v_mul_f64 v[42:43], v[156:157], s[16:17]
	v_add_f64 v[38:39], v[38:39], -v[202:203]
	v_add_f64 v[36:37], v[204:205], v[36:37]
	v_mul_f64 v[202:203], v[96:97], s[20:21]
	v_add_f64 v[208:209], v[208:209], -v[210:211]
	v_mul_f64 v[210:211], v[92:93], s[28:29]
	v_mul_f64 v[204:205], v[128:129], s[24:25]
	v_add_f64 v[28:29], v[28:29], v[44:45]
	v_add_f64 v[30:31], v[30:31], v[46:47]
	v_mul_f64 v[46:47], v[156:157], s[8:9]
	v_add_f64 v[40:41], v[200:201], v[40:41]
	v_add_f64 v[42:43], v[42:43], -v[198:199]
	v_mul_f64 v[44:45], v[178:179], s[8:9]
	v_add_f64 v[38:39], v[12:13], v[38:39]
	v_add_f64 v[36:37], v[14:15], v[36:37]
	v_mul_f64 v[198:199], v[164:165], s[24:25]
	v_mul_f64 v[200:201], v[176:177], s[26:27]
	v_add_f64 v[210:211], v[210:211], -v[2:3]
	v_add_f64 v[204:205], v[204:205], -v[215:216]
	v_add_f64 v[28:29], v[28:29], v[48:49]
	v_mul_f64 v[48:49], v[178:179], s[6:7]
	v_add_f64 v[30:31], v[30:31], v[50:51]
	v_mul_f64 v[50:51], v[162:163], s[38:39]
	v_add_f64 v[46:47], v[46:47], -v[194:195]
	v_add_f64 v[44:45], v[196:197], v[44:45]
	v_mul_f64 v[194:195], v[176:177], s[56:57]
	v_mul_f64 v[196:197], v[172:173], s[48:49]
	v_add_f64 v[28:29], v[28:29], v[52:53]
	v_mul_f64 v[52:53], v[162:163], s[40:41]
	v_add_f64 v[30:31], v[30:31], v[54:55]
	v_mul_f64 v[54:55], v[162:163], s[54:55]
	s_delay_alu instid0(VALU_DEP_4) | instskip(NEXT) | instid1(VALU_DEP_3)
	v_add_f64 v[28:29], v[28:29], v[64:65]
	v_add_f64 v[30:31], v[30:31], v[66:67]
	v_mul_f64 v[66:67], v[156:157], s[6:7]
	s_delay_alu instid0(VALU_DEP_4) | instskip(SKIP_3) | instid1(VALU_DEP_4)
	v_fma_f64 v[64:65], v[156:157], s[28:29], v[54:55]
	v_fma_f64 v[54:55], v[156:157], s[28:29], -v[54:55]
	v_add_f64 v[28:29], v[28:29], v[68:69]
	v_add_f64 v[30:31], v[30:31], v[70:71]
	;; [unrolled: 1-line block ×3, first 2 shown]
	s_delay_alu instid0(VALU_DEP_4)
	v_add_f64 v[54:55], v[12:13], v[54:55]
	s_waitcnt vmcnt(0)
	v_add_f64 v[48:49], v[0:1], v[48:49]
	scratch_load_b64 v[0:1], off, off offset:192 ; 8-byte Folded Reload
	v_add_f64 v[28:29], v[28:29], v[72:73]
	v_add_f64 v[30:31], v[30:31], v[74:75]
	;; [unrolled: 1-line block ×4, first 2 shown]
	v_mul_f64 v[40:41], v[108:109], s[30:31]
	v_add_f64 v[28:29], v[28:29], v[76:77]
	v_add_f64 v[76:77], v[12:13], v[34:35]
	;; [unrolled: 1-line block ×5, first 2 shown]
	v_fma_f64 v[42:43], v[112:113], s[36:37], v[40:41]
	v_add_f64 v[28:29], v[28:29], v[80:81]
	v_add_f64 v[30:31], v[30:31], v[82:83]
	s_delay_alu instid0(VALU_DEP_2) | instskip(SKIP_1) | instid1(VALU_DEP_3)
	v_add_f64 v[28:29], v[28:29], v[56:57]
	v_fma_f64 v[56:57], v[156:157], s[34:35], v[50:51]
	v_add_f64 v[30:31], v[30:31], v[58:59]
	v_fma_f64 v[50:51], v[156:157], s[34:35], -v[50:51]
	v_fma_f64 v[58:59], v[156:157], s[30:31], v[52:53]
	v_fma_f64 v[52:53], v[156:157], s[30:31], -v[52:53]
	v_add_f64 v[24:25], v[28:29], v[24:25]
	v_mul_f64 v[28:29], v[178:179], s[28:29]
	v_add_f64 v[26:27], v[30:31], v[26:27]
	v_add_f64 v[56:57], v[12:13], v[56:57]
	;; [unrolled: 1-line block ×6, first 2 shown]
	v_mul_f64 v[24:25], v[178:179], s[30:31]
	v_add_f64 v[22:23], v[26:27], v[22:23]
	v_fma_f64 v[30:31], v[182:183], s[52:53], v[28:29]
	v_fma_f64 v[28:29], v[182:183], s[54:55], v[28:29]
	v_add_f64 v[16:17], v[20:21], v[16:17]
	v_mul_f64 v[20:21], v[178:179], s[34:35]
	v_fma_f64 v[26:27], v[182:183], s[36:37], v[24:25]
	v_fma_f64 v[24:25], v[182:183], s[40:41], v[24:25]
	v_add_f64 v[18:19], v[22:23], v[18:19]
	v_add_f64 v[70:71], v[14:15], v[30:31]
	;; [unrolled: 1-line block ×5, first 2 shown]
	v_fma_f64 v[22:23], v[182:183], s[46:47], v[20:21]
	v_fma_f64 v[20:21], v[182:183], s[38:39], v[20:21]
	v_add_f64 v[68:69], v[14:15], v[24:25]
	v_mul_f64 v[24:25], v[96:97], s[6:7]
	v_add_f64 v[26:27], v[14:15], v[26:27]
	v_mul_f64 v[182:183], v[164:165], s[20:21]
	v_add_f64 v[30:31], v[208:209], v[30:31]
	s_waitcnt vmcnt(0)
	v_add_f64 v[66:67], v[66:67], -v[0:1]
	scratch_load_b64 v[0:1], off, off offset:336 ; 8-byte Folded Reload
	v_add_f64 v[22:23], v[14:15], v[22:23]
	v_add_f64 v[20:21], v[14:15], v[20:21]
	;; [unrolled: 1-line block ×4, first 2 shown]
	v_fma_f64 v[12:13], v[100:101], s[0:1], v[24:25]
	v_fma_f64 v[24:25], v[100:101], s[42:43], v[24:25]
	s_delay_alu instid0(VALU_DEP_2) | instskip(SKIP_1) | instid1(VALU_DEP_3)
	v_add_f64 v[12:13], v[12:13], v[22:23]
	v_mul_f64 v[22:23], v[102:103], s[42:43]
	v_add_f64 v[20:21], v[24:25], v[20:21]
	v_fma_f64 v[24:25], v[112:113], s[40:41], v[40:41]
	v_fma_f64 v[40:41], v[148:149], s[20:21], -v[194:195]
	v_add_f64 v[12:13], v[42:43], v[12:13]
	v_fma_f64 v[14:15], v[88:89], s[6:7], v[22:23]
	v_mul_f64 v[42:43], v[114:115], s[40:41]
	v_fma_f64 v[22:23], v[88:89], s[6:7], -v[22:23]
	v_add_f64 v[20:21], v[24:25], v[20:21]
	s_delay_alu instid0(VALU_DEP_4) | instskip(NEXT) | instid1(VALU_DEP_4)
	v_add_f64 v[14:15], v[14:15], v[56:57]
	v_fma_f64 v[44:45], v[92:93], s[30:31], v[42:43]
	s_delay_alu instid0(VALU_DEP_4)
	v_add_f64 v[22:23], v[22:23], v[50:51]
	v_fma_f64 v[24:25], v[92:93], s[30:31], -v[42:43]
	v_mul_f64 v[50:51], v[102:103], s[44:45]
	v_mul_f64 v[42:43], v[132:133], s[30:31]
	v_add_f64 v[14:15], v[44:45], v[14:15]
	v_mul_f64 v[44:45], v[120:121], s[8:9]
	v_add_f64 v[22:23], v[24:25], v[22:23]
	s_delay_alu instid0(VALU_DEP_4) | instskip(NEXT) | instid1(VALU_DEP_3)
	v_add_f64 v[42:43], v[217:218], v[42:43]
	v_fma_f64 v[46:47], v[126:127], s[10:11], v[44:45]
	v_fma_f64 v[24:25], v[126:127], s[48:49], v[44:45]
	v_mul_f64 v[44:45], v[120:121], s[34:35]
	s_delay_alu instid0(VALU_DEP_3) | instskip(SKIP_1) | instid1(VALU_DEP_4)
	v_add_f64 v[12:13], v[46:47], v[12:13]
	v_mul_f64 v[46:47], v[124:125], s[48:49]
	v_add_f64 v[20:21], v[24:25], v[20:21]
	s_delay_alu instid0(VALU_DEP_2)
	v_fma_f64 v[48:49], v[104:105], s[8:9], v[46:47]
	v_fma_f64 v[24:25], v[104:105], s[8:9], -v[46:47]
	v_mul_f64 v[46:47], v[108:109], s[28:29]
	s_waitcnt vmcnt(0)
	v_add_f64 v[44:45], v[0:1], v[44:45]
	scratch_load_b64 v[0:1], off, off offset:288 ; 8-byte Folded Reload
	v_add_f64 v[14:15], v[48:49], v[14:15]
	v_mul_f64 v[48:49], v[132:133], s[28:29]
	v_add_f64 v[22:23], v[24:25], v[22:23]
	s_delay_alu instid0(VALU_DEP_2) | instskip(SKIP_2) | instid1(VALU_DEP_3)
	v_fma_f64 v[56:57], v[142:143], s[52:53], v[48:49]
	v_fma_f64 v[24:25], v[142:143], s[54:55], v[48:49]
	v_mul_f64 v[48:49], v[96:97], s[16:17]
	v_add_f64 v[12:13], v[56:57], v[12:13]
	v_mul_f64 v[56:57], v[136:137], s[54:55]
	s_delay_alu instid0(VALU_DEP_4) | instskip(NEXT) | instid1(VALU_DEP_2)
	v_add_f64 v[20:21], v[24:25], v[20:21]
	v_fma_f64 v[80:81], v[116:117], s[28:29], v[56:57]
	v_fma_f64 v[24:25], v[116:117], s[28:29], -v[56:57]
	v_mul_f64 v[56:57], v[108:109], s[20:21]
	s_delay_alu instid0(VALU_DEP_3) | instskip(SKIP_1) | instid1(VALU_DEP_4)
	v_add_f64 v[14:15], v[80:81], v[14:15]
	v_mul_f64 v[80:81], v[144:145], s[16:17]
	v_add_f64 v[22:23], v[24:25], v[22:23]
	s_delay_alu instid0(VALU_DEP_2) | instskip(SKIP_2) | instid1(VALU_DEP_3)
	v_fma_f64 v[82:83], v[160:161], s[18:19], v[80:81]
	v_fma_f64 v[24:25], v[160:161], s[44:45], v[80:81]
	v_mul_f64 v[80:81], v[120:121], s[28:29]
	v_add_f64 v[12:13], v[82:83], v[12:13]
	v_mul_f64 v[82:83], v[168:169], s[44:45]
	s_delay_alu instid0(VALU_DEP_4) | instskip(NEXT) | instid1(VALU_DEP_2)
	v_add_f64 v[20:21], v[24:25], v[20:21]
	v_fma_f64 v[156:157], v[128:129], s[16:17], v[82:83]
	v_fma_f64 v[24:25], v[128:129], s[16:17], -v[82:83]
	v_mul_f64 v[82:83], v[124:125], s[52:53]
	s_waitcnt vmcnt(0)
	v_add_f64 v[46:47], v[0:1], v[46:47]
	scratch_load_b64 v[0:1], off, off offset:256 ; 8-byte Folded Reload
	v_add_f64 v[14:15], v[156:157], v[14:15]
	v_mul_f64 v[156:157], v[152:153], s[24:25]
	v_add_f64 v[22:23], v[24:25], v[22:23]
	s_delay_alu instid0(VALU_DEP_2) | instskip(SKIP_2) | instid1(VALU_DEP_3)
	v_fma_f64 v[162:163], v[170:171], s[50:51], v[156:157]
	v_fma_f64 v[24:25], v[170:171], s[26:27], v[156:157]
	v_mul_f64 v[156:157], v[132:133], s[6:7]
	v_add_f64 v[12:13], v[162:163], v[12:13]
	v_mul_f64 v[162:163], v[172:173], s[26:27]
	s_delay_alu instid0(VALU_DEP_4) | instskip(NEXT) | instid1(VALU_DEP_2)
	v_add_f64 v[20:21], v[24:25], v[20:21]
	v_fma_f64 v[24:25], v[138:139], s[24:25], -v[162:163]
	v_fma_f64 v[178:179], v[138:139], s[24:25], v[162:163]
	v_mul_f64 v[162:163], v[136:137], s[0:1]
	s_delay_alu instid0(VALU_DEP_3) | instskip(SKIP_1) | instid1(VALU_DEP_4)
	v_add_f64 v[24:25], v[24:25], v[22:23]
	v_fma_f64 v[22:23], v[174:175], s[56:57], v[182:183]
	v_add_f64 v[178:179], v[178:179], v[14:15]
	v_fma_f64 v[14:15], v[174:175], s[22:23], v[182:183]
	v_mul_f64 v[182:183], v[168:169], s[38:39]
	s_delay_alu instid0(VALU_DEP_4)
	v_add_f64 v[22:23], v[22:23], v[20:21]
	v_add_f64 v[20:21], v[40:41], v[24:25]
	v_fma_f64 v[24:25], v[100:101], s[18:19], v[48:49]
	v_fma_f64 v[40:41], v[112:113], s[56:57], v[56:57]
	v_add_f64 v[14:15], v[14:15], v[12:13]
	v_fma_f64 v[12:13], v[148:149], s[20:21], v[194:195]
	v_mul_f64 v[194:195], v[152:153], s[8:9]
	v_fma_f64 v[48:49], v[100:101], s[44:45], v[48:49]
	v_add_f64 v[24:25], v[24:25], v[26:27]
	v_fma_f64 v[26:27], v[88:89], s[16:17], v[50:51]
	v_fma_f64 v[50:51], v[88:89], s[16:17], -v[50:51]
	v_add_f64 v[12:13], v[12:13], v[178:179]
	v_mul_f64 v[178:179], v[144:145], s[34:35]
	v_add_f64 v[48:49], v[48:49], v[68:69]
	v_add_f64 v[24:25], v[40:41], v[24:25]
	v_add_f64 v[26:27], v[26:27], v[58:59]
	v_mul_f64 v[58:59], v[114:115], s[22:23]
	v_add_f64 v[50:51], v[50:51], v[52:53]
	v_fma_f64 v[52:53], v[112:113], s[22:23], v[56:57]
	v_fma_f64 v[56:57], v[148:149], s[24:25], -v[200:201]
	s_waitcnt vmcnt(0)
	v_add_f64 v[202:203], v[0:1], v[202:203]
	scratch_load_b64 v[0:1], off, off offset:296 ; 8-byte Folded Reload
	v_fma_f64 v[40:41], v[92:93], s[20:21], v[58:59]
	v_add_f64 v[48:49], v[52:53], v[48:49]
	v_fma_f64 v[52:53], v[92:93], s[20:21], -v[58:59]
	v_add_f64 v[28:29], v[202:203], v[28:29]
	v_mul_f64 v[202:203], v[104:105], s[34:35]
	v_add_f64 v[26:27], v[40:41], v[26:27]
	v_fma_f64 v[40:41], v[126:127], s[54:55], v[80:81]
	v_add_f64 v[50:51], v[52:53], v[50:51]
	v_fma_f64 v[52:53], v[126:127], s[52:53], v[80:81]
	v_add_f64 v[28:29], v[46:47], v[28:29]
	v_mul_f64 v[46:47], v[152:153], s[16:17]
	v_add_f64 v[24:25], v[40:41], v[24:25]
	v_fma_f64 v[40:41], v[104:105], s[28:29], v[82:83]
	v_add_f64 v[48:49], v[52:53], v[48:49]
	v_fma_f64 v[52:53], v[104:105], s[28:29], -v[82:83]
	v_add_f64 v[28:29], v[44:45], v[28:29]
	v_mul_f64 v[44:45], v[138:139], s[16:17]
	v_add_f64 v[26:27], v[40:41], v[26:27]
	v_fma_f64 v[40:41], v[142:143], s[42:43], v[156:157]
	v_add_f64 v[50:51], v[52:53], v[50:51]
	v_fma_f64 v[52:53], v[142:143], s[0:1], v[156:157]
	v_add_f64 v[28:29], v[42:43], v[28:29]
	v_mul_f64 v[42:43], v[164:165], s[6:7]
	v_add_f64 v[24:25], v[40:41], v[24:25]
	v_fma_f64 v[40:41], v[116:117], s[6:7], v[162:163]
	v_add_f64 v[48:49], v[52:53], v[48:49]
	v_fma_f64 v[52:53], v[116:117], s[6:7], -v[162:163]
	v_add_f64 v[42:43], v[219:220], v[42:43]
	s_delay_alu instid0(VALU_DEP_4) | instskip(SKIP_1) | instid1(VALU_DEP_4)
	v_add_f64 v[26:27], v[40:41], v[26:27]
	v_fma_f64 v[40:41], v[160:161], s[46:47], v[178:179]
	v_add_f64 v[50:51], v[52:53], v[50:51]
	v_fma_f64 v[52:53], v[160:161], s[38:39], v[178:179]
	s_delay_alu instid0(VALU_DEP_3) | instskip(SKIP_1) | instid1(VALU_DEP_3)
	v_add_f64 v[24:25], v[40:41], v[24:25]
	v_fma_f64 v[40:41], v[128:129], s[34:35], v[182:183]
	v_add_f64 v[48:49], v[52:53], v[48:49]
	v_fma_f64 v[52:53], v[128:129], s[34:35], -v[182:183]
	s_delay_alu instid0(VALU_DEP_3) | instskip(SKIP_1) | instid1(VALU_DEP_3)
	v_add_f64 v[26:27], v[40:41], v[26:27]
	v_fma_f64 v[40:41], v[170:171], s[10:11], v[194:195]
	v_add_f64 v[50:51], v[52:53], v[50:51]
	v_fma_f64 v[52:53], v[170:171], s[48:49], v[194:195]
	s_delay_alu instid0(VALU_DEP_3) | instskip(SKIP_1) | instid1(VALU_DEP_3)
	v_add_f64 v[24:25], v[40:41], v[24:25]
	v_fma_f64 v[40:41], v[138:139], s[8:9], v[196:197]
	v_add_f64 v[48:49], v[52:53], v[48:49]
	v_fma_f64 v[52:53], v[138:139], s[8:9], -v[196:197]
	s_waitcnt vmcnt(0)
	v_add_f64 v[206:207], v[206:207], -v[0:1]
	scratch_load_b64 v[0:1], off, off offset:240 ; 8-byte Folded Reload
	v_add_f64 v[40:41], v[40:41], v[26:27]
	v_fma_f64 v[26:27], v[174:175], s[50:51], v[198:199]
	v_add_f64 v[52:53], v[52:53], v[50:51]
	v_fma_f64 v[50:51], v[174:175], s[26:27], v[198:199]
	s_delay_alu instid0(VALU_DEP_3) | instskip(SKIP_1) | instid1(VALU_DEP_3)
	v_add_f64 v[26:27], v[26:27], v[24:25]
	v_fma_f64 v[24:25], v[148:149], s[24:25], v[200:201]
	v_add_f64 v[50:51], v[50:51], v[48:49]
	v_add_f64 v[48:49], v[56:57], v[52:53]
	s_delay_alu instid0(VALU_DEP_3) | instskip(SKIP_1) | instid1(VALU_DEP_1)
	v_add_f64 v[24:25], v[24:25], v[40:41]
	v_mul_f64 v[40:41], v[144:145], s[24:25]
	v_add_f64 v[40:41], v[237:238], v[40:41]
	s_delay_alu instid0(VALU_DEP_1)
	v_add_f64 v[28:29], v[40:41], v[28:29]
	v_mul_f64 v[40:41], v[148:149], s[6:7]
	s_waitcnt vmcnt(0)
	v_add_f64 v[202:203], v[202:203], -v[0:1]
	scratch_load_b64 v[0:1], off, off offset:352 ; 8-byte Folded Reload
	v_add_f64 v[30:31], v[202:203], v[30:31]
	v_mul_f64 v[202:203], v[116:117], s[8:9]
	s_delay_alu instid0(VALU_DEP_2) | instskip(SKIP_1) | instid1(VALU_DEP_3)
	v_add_f64 v[30:31], v[206:207], v[30:31]
	v_mul_f64 v[206:207], v[92:93], s[34:35]
	v_add_f64 v[202:203], v[202:203], -v[235:236]
	s_delay_alu instid0(VALU_DEP_3)
	v_add_f64 v[30:31], v[204:205], v[30:31]
	v_mul_f64 v[204:205], v[88:89], s[28:29]
	s_waitcnt vmcnt(0)
	v_add_f64 v[46:47], v[0:1], v[46:47]
	scratch_load_b64 v[0:1], off, off offset:304 ; 8-byte Folded Reload
	v_add_f64 v[28:29], v[46:47], v[28:29]
	v_mul_f64 v[46:47], v[108:109], s[34:35]
	s_delay_alu instid0(VALU_DEP_1)
	v_add_f64 v[46:47], v[223:224], v[46:47]
	s_waitcnt vmcnt(0)
	v_add_f64 v[44:45], v[44:45], -v[0:1]
	scratch_load_b64 v[0:1], off, off offset:312 ; 8-byte Folded Reload
	v_add_f64 v[44:45], v[44:45], v[30:31]
	v_add_f64 v[30:31], v[42:43], v[28:29]
	v_mul_f64 v[42:43], v[132:133], s[8:9]
	s_delay_alu instid0(VALU_DEP_1)
	v_add_f64 v[42:43], v[106:107], v[42:43]
	v_mul_f64 v[106:107], v[96:97], s[28:29]
	s_waitcnt vmcnt(0)
	v_add_f64 v[40:41], v[40:41], -v[0:1]
	scratch_load_b64 v[0:1], off, off offset:360 ; 8-byte Folded Reload
	v_add_f64 v[28:29], v[40:41], v[44:45]
	v_mul_f64 v[44:45], v[120:121], s[24:25]
	v_mul_f64 v[40:41], v[144:145], s[6:7]
	s_delay_alu instid0(VALU_DEP_2) | instskip(NEXT) | instid1(VALU_DEP_2)
	v_add_f64 v[44:45], v[239:240], v[44:45]
	v_add_f64 v[40:41], v[154:155], v[40:41]
	v_mul_f64 v[154:155], v[128:129], s[6:7]
	s_delay_alu instid0(VALU_DEP_1)
	v_add_f64 v[154:155], v[154:155], -v[253:254]
	s_waitcnt vmcnt(0)
	v_add_f64 v[106:107], v[0:1], v[106:107]
	scratch_load_b64 v[0:1], off, off offset:272 ; 8-byte Folded Reload
	v_add_f64 v[32:33], v[106:107], v[32:33]
	v_mul_f64 v[106:107], v[104:105], s[24:25]
	s_delay_alu instid0(VALU_DEP_2) | instskip(SKIP_1) | instid1(VALU_DEP_2)
	v_add_f64 v[32:33], v[46:47], v[32:33]
	v_mul_f64 v[46:47], v[152:153], s[20:21]
	v_add_f64 v[32:33], v[44:45], v[32:33]
	v_mul_f64 v[44:45], v[138:139], s[20:21]
	s_delay_alu instid0(VALU_DEP_3) | instskip(NEXT) | instid1(VALU_DEP_3)
	v_add_f64 v[46:47], v[241:242], v[46:47]
	v_add_f64 v[32:33], v[42:43], v[32:33]
	s_delay_alu instid0(VALU_DEP_3) | instskip(SKIP_1) | instid1(VALU_DEP_3)
	v_add_f64 v[44:45], v[44:45], -v[227:228]
	v_mul_f64 v[42:43], v[164:165], s[30:31]
	v_add_f64 v[32:33], v[40:41], v[32:33]
	v_mul_f64 v[40:41], v[148:149], s[30:31]
	s_delay_alu instid0(VALU_DEP_3) | instskip(NEXT) | instid1(VALU_DEP_3)
	v_add_f64 v[42:43], v[243:244], v[42:43]
	v_add_f64 v[32:33], v[46:47], v[32:33]
	s_delay_alu instid0(VALU_DEP_3) | instskip(SKIP_1) | instid1(VALU_DEP_1)
	v_add_f64 v[40:41], v[40:41], -v[221:222]
	v_mul_f64 v[46:47], v[108:109], s[24:25]
	v_add_f64 v[46:47], v[251:252], v[46:47]
	s_waitcnt vmcnt(0)
	v_add_f64 v[204:205], v[204:205], -v[0:1]
	scratch_load_b64 v[0:1], off, off offset:320 ; 8-byte Folded Reload
	v_add_f64 v[34:35], v[204:205], v[34:35]
	s_waitcnt vmcnt(0)
	v_add_f64 v[206:207], v[206:207], -v[0:1]
	scratch_load_b64 v[0:1], off, off offset:344 ; 8-byte Folded Reload
	;; [unrolled: 4-line block ×3, first 2 shown]
	v_add_f64 v[34:35], v[106:107], v[34:35]
	v_mul_f64 v[106:107], v[96:97], s[34:35]
	s_delay_alu instid0(VALU_DEP_2) | instskip(NEXT) | instid1(VALU_DEP_2)
	v_add_f64 v[34:35], v[202:203], v[34:35]
	v_add_f64 v[106:107], v[233:234], v[106:107]
	s_delay_alu instid0(VALU_DEP_2) | instskip(SKIP_1) | instid1(VALU_DEP_3)
	v_add_f64 v[34:35], v[154:155], v[34:35]
	v_mul_f64 v[154:155], v[92:93], s[24:25]
	v_add_f64 v[36:37], v[106:107], v[36:37]
	v_mul_f64 v[106:107], v[104:105], s[6:7]
	s_delay_alu instid0(VALU_DEP_4)
	v_add_f64 v[44:45], v[44:45], v[34:35]
	v_add_f64 v[34:35], v[42:43], v[32:33]
	v_add_f64 v[154:155], v[154:155], -v[225:226]
	v_mul_f64 v[42:43], v[132:133], s[16:17]
	v_add_f64 v[106:107], v[106:107], -v[231:232]
	v_add_f64 v[36:37], v[46:47], v[36:37]
	v_mul_f64 v[46:47], v[152:153], s[28:29]
	v_add_f64 v[32:33], v[40:41], v[44:45]
	v_mul_f64 v[44:45], v[120:121], s[6:7]
	v_mul_f64 v[40:41], v[144:145], s[30:31]
	v_add_f64 v[42:43], v[158:159], v[42:43]
	v_add_f64 v[46:47], v[122:123], v[46:47]
	s_delay_alu instid0(VALU_DEP_4) | instskip(SKIP_2) | instid1(VALU_DEP_3)
	v_add_f64 v[44:45], v[118:119], v[44:45]
	v_mul_f64 v[118:119], v[128:129], s[30:31]
	v_add_f64 v[40:41], v[188:189], v[40:41]
	v_add_f64 v[36:37], v[44:45], v[36:37]
	s_delay_alu instid0(VALU_DEP_3) | instskip(SKIP_2) | instid1(VALU_DEP_4)
	v_add_f64 v[118:119], v[118:119], -v[146:147]
	v_mul_f64 v[146:147], v[116:117], s[16:17]
	v_mul_f64 v[44:45], v[138:139], s[28:29]
	v_add_f64 v[36:37], v[42:43], v[36:37]
	v_mul_f64 v[42:43], v[164:165], s[8:9]
	s_delay_alu instid0(VALU_DEP_4)
	v_add_f64 v[98:99], v[146:147], -v[98:99]
	v_mul_f64 v[146:147], v[88:89], s[34:35]
	v_add_f64 v[44:45], v[44:45], -v[94:95]
	v_mul_f64 v[94:95], v[96:97], s[30:31]
	v_add_f64 v[36:37], v[40:41], v[36:37]
	v_mul_f64 v[40:41], v[148:149], s[8:9]
	v_add_f64 v[42:43], v[110:111], v[42:43]
	v_add_f64 v[146:147], v[146:147], -v[213:214]
	v_mul_f64 v[110:111], v[92:93], s[8:9]
	v_add_f64 v[90:91], v[90:91], v[94:95]
	v_mul_f64 v[94:95], v[128:129], s[20:21]
	v_add_f64 v[36:37], v[46:47], v[36:37]
	v_add_f64 v[40:41], v[40:41], -v[249:250]
	v_mul_f64 v[46:47], v[108:109], s[8:9]
	v_add_f64 v[38:39], v[146:147], v[38:39]
	v_add_f64 v[110:111], v[110:111], -v[245:246]
	v_add_f64 v[74:75], v[90:91], v[74:75]
	v_mul_f64 v[90:91], v[104:105], s[16:17]
	v_add_f64 v[94:95], v[94:95], -v[186:187]
	v_add_f64 v[46:47], v[134:135], v[46:47]
	v_add_f64 v[38:39], v[154:155], v[38:39]
	s_delay_alu instid0(VALU_DEP_4) | instskip(NEXT) | instid1(VALU_DEP_3)
	v_add_f64 v[90:91], v[90:91], -v[247:248]
	v_add_f64 v[46:47], v[46:47], v[74:75]
	s_delay_alu instid0(VALU_DEP_3) | instskip(SKIP_1) | instid1(VALU_DEP_2)
	v_add_f64 v[38:39], v[106:107], v[38:39]
	v_mul_f64 v[106:107], v[88:89], s[30:31]
	v_add_f64 v[38:39], v[98:99], v[38:39]
	s_delay_alu instid0(VALU_DEP_2) | instskip(SKIP_1) | instid1(VALU_DEP_3)
	v_add_f64 v[106:107], v[106:107], -v[229:230]
	v_mul_f64 v[98:99], v[116:117], s[34:35]
	v_add_f64 v[38:39], v[118:119], v[38:39]
	s_delay_alu instid0(VALU_DEP_3) | instskip(NEXT) | instid1(VALU_DEP_3)
	v_add_f64 v[76:77], v[106:107], v[76:77]
	v_add_f64 v[98:99], v[98:99], -v[150:151]
	s_delay_alu instid0(VALU_DEP_3)
	v_add_f64 v[44:45], v[44:45], v[38:39]
	v_add_f64 v[38:39], v[42:43], v[36:37]
	v_mul_f64 v[42:43], v[132:133], s[34:35]
	v_add_f64 v[74:75], v[110:111], v[76:77]
	v_mul_f64 v[76:77], v[152:153], s[6:7]
	;; [unrolled: 2-line block ×3, first 2 shown]
	v_mul_f64 v[40:41], v[144:145], s[20:21]
	v_add_f64 v[42:43], v[190:191], v[42:43]
	v_add_f64 v[76:77], v[184:185], v[76:77]
	s_delay_alu instid0(VALU_DEP_4) | instskip(NEXT) | instid1(VALU_DEP_4)
	v_add_f64 v[44:45], v[180:181], v[44:45]
	v_add_f64 v[40:41], v[192:193], v[40:41]
	s_delay_alu instid0(VALU_DEP_2) | instskip(SKIP_2) | instid1(VALU_DEP_3)
	v_add_f64 v[44:45], v[44:45], v[46:47]
	v_add_f64 v[46:47], v[90:91], v[74:75]
	v_mul_f64 v[74:75], v[138:139], s[6:7]
	v_add_f64 v[42:43], v[42:43], v[44:45]
	s_delay_alu instid0(VALU_DEP_3) | instskip(NEXT) | instid1(VALU_DEP_3)
	v_add_f64 v[44:45], v[98:99], v[46:47]
	v_add_f64 v[74:75], v[74:75], -v[140:141]
	v_mul_f64 v[46:47], v[164:165], s[28:29]
	s_delay_alu instid0(VALU_DEP_4) | instskip(NEXT) | instid1(VALU_DEP_4)
	v_add_f64 v[40:41], v[40:41], v[42:43]
	v_add_f64 v[42:43], v[94:95], v[44:45]
	v_mul_f64 v[44:45], v[148:149], s[28:29]
	s_delay_alu instid0(VALU_DEP_4) | instskip(NEXT) | instid1(VALU_DEP_4)
	v_add_f64 v[46:47], v[166:167], v[46:47]
	v_add_f64 v[40:41], v[76:77], v[40:41]
	s_delay_alu instid0(VALU_DEP_4) | instskip(NEXT) | instid1(VALU_DEP_4)
	v_add_f64 v[74:75], v[74:75], v[42:43]
	v_add_f64 v[44:45], v[44:45], -v[130:131]
	v_mul_f64 v[130:131], v[164:165], s[16:17]
	s_delay_alu instid0(VALU_DEP_4) | instskip(NEXT) | instid1(VALU_DEP_3)
	v_add_f64 v[42:43], v[46:47], v[40:41]
	v_add_f64 v[40:41], v[44:45], v[74:75]
	v_mul_f64 v[74:75], v[96:97], s[24:25]
	s_delay_alu instid0(VALU_DEP_4) | instskip(NEXT) | instid1(VALU_DEP_2)
	v_fma_f64 v[80:81], v[174:175], s[18:19], v[130:131]
	v_fma_f64 v[44:45], v[100:101], s[50:51], v[74:75]
	;; [unrolled: 1-line block ×3, first 2 shown]
	s_delay_alu instid0(VALU_DEP_2) | instskip(SKIP_1) | instid1(VALU_DEP_3)
	v_add_f64 v[44:45], v[44:45], v[72:73]
	v_mul_f64 v[72:73], v[102:103], s[50:51]
	v_add_f64 v[52:53], v[52:53], v[70:71]
	s_delay_alu instid0(VALU_DEP_2) | instskip(SKIP_2) | instid1(VALU_DEP_3)
	v_fma_f64 v[46:47], v[88:89], s[24:25], -v[72:73]
	v_fma_f64 v[70:71], v[88:89], s[24:25], v[72:73]
	v_mul_f64 v[72:73], v[128:129], s[28:29]
	v_add_f64 v[46:47], v[46:47], v[54:55]
	v_mul_f64 v[54:55], v[108:109], s[6:7]
	s_delay_alu instid0(VALU_DEP_4) | instskip(SKIP_1) | instid1(VALU_DEP_3)
	v_add_f64 v[64:65], v[70:71], v[64:65]
	v_mul_f64 v[70:71], v[96:97], s[8:9]
	v_fma_f64 v[76:77], v[112:113], s[0:1], v[54:55]
	v_fma_f64 v[54:55], v[112:113], s[42:43], v[54:55]
	s_delay_alu instid0(VALU_DEP_2) | instskip(SKIP_1) | instid1(VALU_DEP_3)
	v_add_f64 v[44:45], v[76:77], v[44:45]
	v_mul_f64 v[76:77], v[114:115], s[0:1]
	v_add_f64 v[52:53], v[54:55], v[52:53]
	s_delay_alu instid0(VALU_DEP_2) | instskip(SKIP_2) | instid1(VALU_DEP_3)
	v_fma_f64 v[90:91], v[92:93], s[6:7], -v[76:77]
	v_fma_f64 v[54:55], v[92:93], s[6:7], v[76:77]
	v_mul_f64 v[76:77], v[88:89], s[8:9]
	v_add_f64 v[46:47], v[90:91], v[46:47]
	v_mul_f64 v[90:91], v[120:121], s[30:31]
	s_delay_alu instid0(VALU_DEP_4) | instskip(NEXT) | instid1(VALU_DEP_2)
	v_add_f64 v[54:55], v[54:55], v[64:65]
	v_fma_f64 v[94:95], v[126:127], s[40:41], v[90:91]
	v_fma_f64 v[74:75], v[126:127], s[36:37], v[90:91]
	s_delay_alu instid0(VALU_DEP_2) | instskip(SKIP_1) | instid1(VALU_DEP_3)
	v_add_f64 v[44:45], v[94:95], v[44:45]
	v_mul_f64 v[94:95], v[124:125], s[40:41]
	v_add_f64 v[52:53], v[74:75], v[52:53]
	v_mul_f64 v[124:125], v[176:177], s[44:45]
	v_mul_f64 v[74:75], v[116:117], s[24:25]
	s_delay_alu instid0(VALU_DEP_4) | instskip(SKIP_1) | instid1(VALU_DEP_2)
	v_fma_f64 v[98:99], v[104:105], s[30:31], -v[94:95]
	v_fma_f64 v[64:65], v[104:105], s[30:31], v[94:95]
	v_add_f64 v[46:47], v[98:99], v[46:47]
	v_mul_f64 v[98:99], v[132:133], s[20:21]
	s_delay_alu instid0(VALU_DEP_3) | instskip(NEXT) | instid1(VALU_DEP_2)
	v_add_f64 v[54:55], v[64:65], v[54:55]
	v_fma_f64 v[102:103], v[142:143], s[56:57], v[98:99]
	v_fma_f64 v[68:69], v[142:143], s[22:23], v[98:99]
	s_delay_alu instid0(VALU_DEP_2) | instskip(SKIP_1) | instid1(VALU_DEP_3)
	v_add_f64 v[44:45], v[102:103], v[44:45]
	v_mul_f64 v[102:103], v[136:137], s[56:57]
	v_add_f64 v[52:53], v[68:69], v[52:53]
	v_mul_f64 v[68:69], v[108:109], s[16:17]
	s_delay_alu instid0(VALU_DEP_3) | instskip(SKIP_1) | instid1(VALU_DEP_2)
	v_fma_f64 v[106:107], v[116:117], s[20:21], -v[102:103]
	v_fma_f64 v[64:65], v[116:117], s[20:21], v[102:103]
	v_add_f64 v[46:47], v[106:107], v[46:47]
	v_mul_f64 v[106:107], v[144:145], s[8:9]
	s_delay_alu instid0(VALU_DEP_3) | instskip(SKIP_1) | instid1(VALU_DEP_3)
	v_add_f64 v[54:55], v[64:65], v[54:55]
	v_mul_f64 v[64:65], v[120:121], s[20:21]
	v_fma_f64 v[110:111], v[160:161], s[10:11], v[106:107]
	v_fma_f64 v[58:59], v[160:161], s[48:49], v[106:107]
	s_delay_alu instid0(VALU_DEP_2) | instskip(SKIP_1) | instid1(VALU_DEP_3)
	v_add_f64 v[44:45], v[110:111], v[44:45]
	v_mul_f64 v[110:111], v[168:169], s[10:11]
	v_add_f64 v[52:53], v[58:59], v[52:53]
	s_delay_alu instid0(VALU_DEP_2) | instskip(SKIP_1) | instid1(VALU_DEP_2)
	v_fma_f64 v[114:115], v[128:129], s[8:9], -v[110:111]
	v_fma_f64 v[58:59], v[128:129], s[8:9], v[110:111]
	v_add_f64 v[46:47], v[114:115], v[46:47]
	v_mul_f64 v[114:115], v[152:153], s[34:35]
	s_delay_alu instid0(VALU_DEP_3) | instskip(SKIP_1) | instid1(VALU_DEP_3)
	v_add_f64 v[54:55], v[58:59], v[54:55]
	v_fma_f64 v[58:59], v[148:149], s[16:17], v[124:125]
	v_fma_f64 v[118:119], v[170:171], s[38:39], v[114:115]
	;; [unrolled: 1-line block ×3, first 2 shown]
	s_delay_alu instid0(VALU_DEP_2) | instskip(SKIP_1) | instid1(VALU_DEP_3)
	v_add_f64 v[44:45], v[118:119], v[44:45]
	v_mul_f64 v[118:119], v[172:173], s[38:39]
	v_add_f64 v[52:53], v[56:57], v[52:53]
	s_delay_alu instid0(VALU_DEP_2) | instskip(SKIP_1) | instid1(VALU_DEP_2)
	v_fma_f64 v[56:57], v[138:139], s[34:35], v[118:119]
	v_fma_f64 v[122:123], v[138:139], s[34:35], -v[118:119]
	v_add_f64 v[56:57], v[56:57], v[54:55]
	s_delay_alu instid0(VALU_DEP_4) | instskip(SKIP_1) | instid1(VALU_DEP_4)
	v_add_f64 v[54:55], v[80:81], v[52:53]
	v_mul_f64 v[80:81], v[92:93], s[16:17]
	v_add_f64 v[122:123], v[122:123], v[46:47]
	v_fma_f64 v[46:47], v[174:175], s[44:45], v[130:131]
	v_add_f64 v[52:53], v[58:59], v[56:57]
	v_mul_f64 v[56:57], v[144:145], s[28:29]
	v_mul_f64 v[58:59], v[132:133], s[24:25]
	s_delay_alu instid0(VALU_DEP_4) | instskip(SKIP_2) | instid1(VALU_DEP_4)
	v_add_f64 v[46:47], v[46:47], v[44:45]
	v_fma_f64 v[44:45], v[148:149], s[16:17], -v[124:125]
	s_waitcnt vmcnt(0)
	v_add_f64 v[56:57], v[0:1], v[56:57]
	scratch_load_b64 v[0:1], off, off offset:144 ; 8-byte Folded Reload
	v_add_f64 v[44:45], v[44:45], v[122:123]
	s_waitcnt vmcnt(0)
	v_add_f64 v[58:59], v[0:1], v[58:59]
	scratch_load_b64 v[0:1], off, off offset:112 ; 8-byte Folded Reload
	s_waitcnt vmcnt(0)
	v_add_f64 v[64:65], v[0:1], v[64:65]
	scratch_load_b64 v[0:1], off, off offset:80 ; 8-byte Folded Reload
	;; [unrolled: 3-line block ×4, first 2 shown]
	v_add_f64 v[70:71], v[70:71], v[78:79]
	s_delay_alu instid0(VALU_DEP_1) | instskip(SKIP_1) | instid1(VALU_DEP_2)
	v_add_f64 v[68:69], v[68:69], v[70:71]
	v_mul_f64 v[70:71], v[152:153], s[30:31]
	v_add_f64 v[64:65], v[64:65], v[68:69]
	v_mul_f64 v[68:69], v[138:139], s[30:31]
	s_delay_alu instid0(VALU_DEP_2) | instskip(NEXT) | instid1(VALU_DEP_1)
	v_add_f64 v[58:59], v[58:59], v[64:65]
	v_add_f64 v[56:57], v[56:57], v[58:59]
	s_waitcnt vmcnt(0)
	v_add_f64 v[72:73], v[72:73], -v[0:1]
	scratch_load_b64 v[0:1], off, off offset:96 ; 8-byte Folded Reload
	s_waitcnt vmcnt(0)
	v_add_f64 v[74:75], v[74:75], -v[0:1]
	scratch_load_b64 v[0:1], off, off offset:8 ; 8-byte Folded Reload
	s_waitcnt vmcnt(0)
	v_add_f64 v[76:77], v[76:77], -v[0:1]
	scratch_load_b64 v[0:1], off, off offset:32 ; 8-byte Folded Reload
	v_add_f64 v[66:67], v[76:77], v[66:67]
	v_mul_f64 v[76:77], v[104:105], s[20:21]
	s_waitcnt vmcnt(0)
	v_add_f64 v[80:81], v[80:81], -v[0:1]
	scratch_load_b64 v[0:1], off, off offset:64 ; 8-byte Folded Reload
	v_add_f64 v[66:67], v[80:81], v[66:67]
	s_waitcnt vmcnt(0)
	v_add_f64 v[76:77], v[76:77], -v[0:1]
	scratch_load_b64 v[0:1], off, off offset:184 ; 8-byte Folded Reload
	v_add_f64 v[66:67], v[76:77], v[66:67]
	s_delay_alu instid0(VALU_DEP_1) | instskip(SKIP_1) | instid1(VALU_DEP_2)
	v_add_f64 v[64:65], v[74:75], v[66:67]
	v_mul_f64 v[66:67], v[164:165], s[34:35]
	v_add_f64 v[58:59], v[72:73], v[64:65]
	v_mul_f64 v[64:65], v[148:149], s[34:35]
	s_waitcnt vmcnt(0)
	v_add_f64 v[70:71], v[0:1], v[70:71]
	scratch_load_b64 v[0:1], off, off offset:160 ; 8-byte Folded Reload
	v_add_f64 v[56:57], v[70:71], v[56:57]
	s_waitcnt vmcnt(0)
	v_add_f64 v[68:69], v[68:69], -v[0:1]
	scratch_load_b64 v[0:1], off, off offset:208 ; 8-byte Folded Reload
	v_add_f64 v[68:69], v[68:69], v[58:59]
	s_waitcnt vmcnt(0)
	v_add_f64 v[66:67], v[0:1], v[66:67]
	scratch_load_b64 v[0:1], off, off offset:176 ; 8-byte Folded Reload
	v_add_f64 v[58:59], v[66:67], v[56:57]
	s_waitcnt vmcnt(0)
	v_add_f64 v[64:65], v[64:65], -v[0:1]
	v_mul_lo_u16 v0, v212, 17
	s_delay_alu instid0(VALU_DEP_1) | instskip(NEXT) | instid1(VALU_DEP_1)
	v_and_b32_e32 v0, 0xffff, v0
	v_lshlrev_b32_e32 v0, 4, v0
	s_delay_alu instid0(VALU_DEP_4)
	v_add_f64 v[56:57], v[64:65], v[68:69]
	ds_store_b128 v0, v[28:31] offset:32
	ds_store_b128 v0, v[32:35] offset:48
	;; [unrolled: 1-line block ×15, first 2 shown]
	ds_store_b128 v0, v[16:19]
	scratch_load_b128 v[12:15], off, off offset:16 ; 16-byte Folded Reload
	s_waitcnt vmcnt(0)
	ds_store_b128 v0, v[12:15] offset:256
.LBB0_7:
	s_or_b32 exec_lo, exec_lo, s33
	v_and_b32_e32 v0, 0xff, v212
	v_add_co_u32 v1, null, 0xee, v212
	v_add_nc_u16 v12, v212, 0x77
	v_add_co_u32 v2, null, 0x165, v212
	s_delay_alu instid0(VALU_DEP_4) | instskip(SKIP_1) | instid1(VALU_DEP_4)
	v_mul_lo_u16 v0, 0xf1, v0
	v_add_co_u32 v3, null, 0x1dc, v212
	v_and_b32_e32 v15, 0xff, v12
	v_and_b32_e32 v16, 0xffff, v1
	s_delay_alu instid0(VALU_DEP_4) | instskip(SKIP_3) | instid1(VALU_DEP_4)
	v_lshrrev_b16 v0, 12, v0
	v_add_co_u32 v14, null, 0x253, v212
	v_and_b32_e32 v17, 0xffff, v2
	v_and_b32_e32 v19, 0xffff, v3
	v_mul_lo_u16 v13, v0, 17
	v_mul_u32_u24_e32 v16, 0xf0f1, v16
	s_load_b128 s[4:7], s[4:5], 0x0
	v_mul_u32_u24_e32 v17, 0xf0f1, v17
	s_waitcnt lgkmcnt(0)
	v_sub_nc_u16 v18, v212, v13
	v_mul_lo_u16 v13, 0xf1, v15
	v_and_b32_e32 v15, 0xffff, v14
	v_lshrrev_b32_e32 v38, 20, v16
	v_lshrrev_b32_e32 v39, 20, v17
	v_and_b32_e32 v36, 0xff, v18
	v_lshrrev_b16 v37, 12, v13
	v_mul_u32_u24_e32 v18, 0xf0f1, v19
	v_mul_u32_u24_e32 v15, 0xf0f1, v15
	v_mul_lo_u16 v17, v38, 17
	v_lshlrev_b32_e32 v16, 4, v36
	v_mul_lo_u16 v19, v37, 17
	v_lshrrev_b32_e32 v40, 20, v18
	v_lshrrev_b32_e32 v41, 20, v15
	v_mul_lo_u16 v18, v39, 17
	v_sub_nc_u16 v1, v1, v17
	v_sub_nc_u16 v15, v12, v19
	v_mul_lo_u16 v17, v40, 17
	v_mul_lo_u16 v19, v41, 17
	v_sub_nc_u16 v2, v2, v18
	s_barrier
	v_and_b32_e32 v42, 0xff, v15
	v_and_b32_e32 v15, 0xffff, v1
	v_sub_nc_u16 v3, v3, v17
	v_sub_nc_u16 v43, v14, v19
	v_and_b32_e32 v17, 0xffff, v2
	v_lshlrev_b32_e32 v14, 4, v42
	v_lshlrev_b32_e32 v15, 4, v15
	v_and_b32_e32 v18, 0xffff, v3
	v_and_b32_e32 v19, 0xffff, v43
	buffer_gl0_inv
	global_load_b128 v[52:55], v16, s[2:3]
	v_lshlrev_b32_e32 v16, 4, v17
	s_clause 0x1
	global_load_b128 v[56:59], v14, s[2:3]
	global_load_b128 v[102:105], v15, s[2:3]
	v_lshlrev_b32_e32 v14, 4, v18
	v_lshlrev_b32_e32 v15, 4, v19
	s_clause 0x2
	global_load_b128 v[106:109], v16, s[2:3]
	global_load_b128 v[48:51], v14, s[2:3]
	;; [unrolled: 1-line block ×3, first 2 shown]
	v_and_b32_e32 v14, 0xffff, v212
	v_mul_lo_u16 v0, v0, 34
	v_cmp_gt_u16_e64 s0, 0x55, v212
	s_delay_alu instid0(VALU_DEP_3)
	v_lshlrev_b32_e32 v188, 4, v14
	ds_load_b128 v[14:17], v188 offset:11424
	ds_load_b128 v[18:21], v188 offset:13328
	;; [unrolled: 1-line block ×6, first 2 shown]
	v_and_b32_e32 v0, 0xfe, v0
	s_waitcnt vmcnt(5) lgkmcnt(5)
	v_mul_f64 v[34:35], v[16:17], v[54:55]
	v_mul_f64 v[68:69], v[14:15], v[54:55]
	s_waitcnt vmcnt(4) lgkmcnt(4)
	v_mul_f64 v[70:71], v[20:21], v[58:59]
	v_mul_f64 v[72:73], v[18:19], v[58:59]
	s_waitcnt vmcnt(3) lgkmcnt(3)
	v_mul_f64 v[74:75], v[24:25], v[104:105]
	v_mul_f64 v[76:77], v[22:23], v[104:105]
	s_waitcnt vmcnt(2) lgkmcnt(2)
	v_mul_f64 v[78:79], v[28:29], v[108:109]
	v_mul_f64 v[80:81], v[26:27], v[108:109]
	s_waitcnt vmcnt(0) lgkmcnt(0)
	v_mul_f64 v[90:91], v[66:67], v[46:47]
	v_mul_f64 v[92:93], v[64:65], v[46:47]
	v_mul_f64 v[82:83], v[32:33], v[50:51]
	v_mul_f64 v[88:89], v[30:31], v[50:51]
	s_clause 0x1
	scratch_store_b128 off, v[102:105], off offset:32
	scratch_store_b128 off, v[106:109], off offset:48
	v_fma_f64 v[34:35], v[14:15], v[52:53], -v[34:35]
	v_fma_f64 v[94:95], v[16:17], v[52:53], v[68:69]
	v_fma_f64 v[96:97], v[18:19], v[56:57], -v[70:71]
	v_fma_f64 v[98:99], v[20:21], v[56:57], v[72:73]
	;; [unrolled: 2-line block ×6, first 2 shown]
	ds_load_b128 v[14:17], v188
	ds_load_b128 v[18:21], v188 offset:1904
	ds_load_b128 v[22:25], v188 offset:3808
	;; [unrolled: 1-line block ×5, first 2 shown]
	s_waitcnt lgkmcnt(0)
	s_waitcnt_vscnt null, 0x0
	s_barrier
	buffer_gl0_inv
	v_add_f64 v[68:69], v[14:15], -v[34:35]
	v_add_f64 v[70:71], v[16:17], -v[94:95]
	;; [unrolled: 1-line block ×12, first 2 shown]
	v_add_lshl_u32 v83, v0, v36, 4
	v_mad_u16 v0, v38, 34, v1
	v_mad_u16 v1, v39, 34, v2
	;; [unrolled: 1-line block ×4, first 2 shown]
	s_delay_alu instid0(VALU_DEP_4) | instskip(NEXT) | instid1(VALU_DEP_4)
	v_and_b32_e32 v0, 0xffff, v0
	v_and_b32_e32 v1, 0xffff, v1
	s_delay_alu instid0(VALU_DEP_4) | instskip(NEXT) | instid1(VALU_DEP_4)
	v_and_b32_e32 v2, 0xffff, v2
	v_and_b32_e32 v3, 0xffff, v3
	s_delay_alu instid0(VALU_DEP_4) | instskip(NEXT) | instid1(VALU_DEP_4)
	v_lshlrev_b32_e32 v89, 4, v0
	v_lshlrev_b32_e32 v88, 4, v1
	s_delay_alu instid0(VALU_DEP_4) | instskip(NEXT) | instid1(VALU_DEP_4)
	v_lshlrev_b32_e32 v0, 4, v2
	v_lshlrev_b32_e32 v1, 4, v3
	v_fma_f64 v[14:15], v[14:15], 2.0, -v[68:69]
	v_fma_f64 v[16:17], v[16:17], 2.0, -v[70:71]
	;; [unrolled: 1-line block ×12, first 2 shown]
	v_and_b32_e32 v30, 0xffff, v37
	s_delay_alu instid0(VALU_DEP_1) | instskip(NEXT) | instid1(VALU_DEP_1)
	v_mul_u32_u24_e32 v30, 34, v30
	v_add_lshl_u32 v90, v30, v42, 4
	ds_store_b128 v83, v[14:17]
	ds_store_b128 v83, v[68:71] offset:272
	ds_store_b128 v90, v[18:21]
	ds_store_b128 v90, v[72:75] offset:272
	;; [unrolled: 2-line block ×4, first 2 shown]
	ds_store_b128 v0, v[104:107]
	scratch_store_b32 off, v0, off offset:176 ; 4-byte Folded Spill
	ds_store_b128 v0, v[100:103] offset:272
	ds_store_b128 v1, v[112:115]
	scratch_store_b32 off, v1, off offset:184 ; 4-byte Folded Spill
	ds_store_b128 v1, v[108:111] offset:272
	s_waitcnt lgkmcnt(0)
	s_waitcnt_vscnt null, 0x0
	s_barrier
	buffer_gl0_inv
	ds_load_b128 v[96:99], v188
	ds_load_b128 v[132:135], v188 offset:3264
	ds_load_b128 v[128:131], v188 offset:6528
	;; [unrolled: 1-line block ×6, first 2 shown]
	s_and_saveexec_b32 s1, s0
	s_cbranch_execz .LBB0_9
; %bb.8:
	ds_load_b128 v[92:95], v188 offset:1904
	ds_load_b128 v[104:107], v188 offset:5168
	;; [unrolled: 1-line block ×7, first 2 shown]
.LBB0_9:
	s_or_b32 exec_lo, exec_lo, s1
	v_and_b32_e32 v0, 0xff, v212
	v_lshrrev_b16 v1, 13, v13
	s_mov_b32 s10, 0x37e14327
	s_mov_b32 s16, 0xe976ee23
	;; [unrolled: 1-line block ×3, first 2 shown]
	v_mul_lo_u16 v0, 0xf1, v0
	scratch_store_b32 off, v1, off offset:160 ; 4-byte Folded Spill
	v_mul_lo_u16 v1, v1, 34
	s_mov_b32 s8, 0x36b3c0b5
	s_mov_b32 s11, 0x3fe948f6
	v_lshrrev_b16 v0, 13, v0
	s_mov_b32 s17, 0xbfe11646
	v_sub_nc_u16 v1, v12, v1
	s_mov_b32 s19, 0x3febfeb5
	s_mov_b32 s9, 0x3fac98ee
	v_mul_lo_u16 v2, v0, 34
	s_mov_b32 s20, 0xaaaaaaaa
	v_and_b32_e32 v3, 0xff, v1
	s_mov_b32 s21, 0xbff2aaaa
	s_mov_b32 s23, 0xbfe77f67
	v_sub_nc_u16 v1, v212, v2
	s_mov_b32 s25, 0xbfd5d0dc
	v_mad_u64_u32 v[24:25], null, 0x60, v3, s[2:3]
	scratch_store_b32 off, v3, off offset:168 ; 4-byte Folded Spill
	v_and_b32_e32 v1, 0xff, v1
	v_and_b32_e32 v0, 0xffff, v0
	global_load_b128 v[12:15], v[24:25], off offset:272
	v_mad_u64_u32 v[64:65], null, 0x60, v1, s[2:3]
	v_mul_u32_u24_e32 v0, 0xee, v0
	s_clause 0xa
	global_load_b128 v[76:79], v[24:25], off offset:288
	global_load_b128 v[16:19], v[24:25], off offset:336
	;; [unrolled: 1-line block ×11, first 2 shown]
	s_waitcnt vmcnt(10) lgkmcnt(4)
	v_mul_f64 v[144:145], v[102:103], v[78:79]
	v_mul_f64 v[146:147], v[100:101], v[78:79]
	s_waitcnt vmcnt(9) lgkmcnt(1)
	v_mul_f64 v[148:149], v[86:87], v[18:19]
	v_mul_f64 v[150:151], v[84:85], v[18:19]
	;; [unrolled: 1-line block ×4, first 2 shown]
	s_waitcnt vmcnt(8) lgkmcnt(0)
	v_mul_f64 v[152:153], v[62:63], v[32:33]
	v_mul_f64 v[154:155], v[60:61], v[32:33]
	s_waitcnt vmcnt(7)
	v_mul_f64 v[158:159], v[132:133], v[195:196]
	s_waitcnt vmcnt(6)
	v_mul_f64 v[162:163], v[128:129], v[191:192]
	s_waitcnt vmcnt(5)
	v_mul_f64 v[166:167], v[136:137], v[40:41]
	s_waitcnt vmcnt(4)
	v_mul_f64 v[170:171], v[124:125], v[74:75]
	v_mul_f64 v[156:157], v[134:135], v[195:196]
	;; [unrolled: 1-line block ×5, first 2 shown]
	s_waitcnt vmcnt(3)
	v_mul_f64 v[172:173], v[114:115], v[28:29]
	v_mul_f64 v[174:175], v[112:113], v[28:29]
	s_waitcnt vmcnt(2)
	v_mul_f64 v[176:177], v[110:111], v[22:23]
	v_mul_f64 v[178:179], v[108:109], v[22:23]
	;; [unrolled: 3-line block ×4, first 2 shown]
	s_clause 0x9
	scratch_store_b128 off, v[76:79], off offset:272
	scratch_store_b128 off, v[30:33], off offset:256
	;; [unrolled: 1-line block ×10, first 2 shown]
	s_waitcnt_vscnt null, 0x0
	s_barrier
	buffer_gl0_inv
	v_fma_f64 v[100:101], v[100:101], v[76:77], -v[144:145]
	v_fma_f64 v[102:103], v[102:103], v[76:77], v[146:147]
	v_fma_f64 v[84:85], v[84:85], v[16:17], -v[148:149]
	v_fma_f64 v[86:87], v[86:87], v[16:17], v[150:151]
	;; [unrolled: 2-line block ×4, first 2 shown]
	v_fma_f64 v[134:135], v[134:135], v[193:194], v[158:159]
	v_fma_f64 v[130:131], v[130:131], v[189:190], v[162:163]
	;; [unrolled: 1-line block ×4, first 2 shown]
	v_fma_f64 v[132:133], v[132:133], v[193:194], -v[156:157]
	v_fma_f64 v[128:129], v[128:129], v[189:190], -v[160:161]
	;; [unrolled: 1-line block ×5, first 2 shown]
	v_fma_f64 v[114:115], v[114:115], v[26:27], v[174:175]
	v_fma_f64 v[108:109], v[108:109], v[20:21], -v[176:177]
	v_fma_f64 v[110:111], v[110:111], v[20:21], v[178:179]
	v_fma_f64 v[116:117], v[116:117], v[34:35], -v[180:181]
	;; [unrolled: 2-line block ×3, first 2 shown]
	v_fma_f64 v[122:123], v[122:123], v[68:69], v[186:187]
	v_add_lshl_u32 v76, v0, v1, 4
	v_add_f64 v[144:145], v[100:101], v[84:85]
	v_add_f64 v[146:147], v[102:103], v[86:87]
	v_add_f64 v[102:103], v[102:103], -v[86:87]
	v_add_f64 v[140:141], v[104:105], v[60:61]
	v_add_f64 v[142:143], v[106:107], v[62:63]
	v_add_f64 v[156:157], v[104:105], -v[60:61]
	v_add_f64 v[158:159], v[106:107], -v[62:63]
	v_add_f64 v[150:151], v[134:135], v[138:139]
	v_add_f64 v[154:155], v[130:131], v[126:127]
	v_add_f64 v[60:61], v[100:101], -v[84:85]
	v_add_f64 v[148:149], v[132:133], v[136:137]
	v_add_f64 v[152:153], v[128:129], v[124:125]
	v_add_f64 v[106:107], v[128:129], -v[124:125]
	v_add_f64 v[124:125], v[134:135], -v[138:139]
	v_add_f64 v[62:63], v[112:113], v[108:109]
	v_add_f64 v[160:161], v[114:115], v[110:111]
	v_add_f64 v[104:105], v[110:111], -v[114:115]
	v_add_f64 v[110:111], v[130:131], -v[126:127]
	v_add_f64 v[84:85], v[116:117], v[120:121]
	v_add_f64 v[114:115], v[120:121], -v[116:117]
	v_add_f64 v[116:117], v[122:123], -v[118:119]
	;; [unrolled: 1-line block ×3, first 2 shown]
	v_add_f64 v[118:119], v[118:119], v[122:123]
	v_add_f64 v[108:109], v[108:109], -v[112:113]
	v_add_f64 v[86:87], v[144:145], v[140:141]
	v_add_f64 v[100:101], v[146:147], v[142:143]
	v_add_f64 v[134:135], v[102:103], -v[158:159]
	v_add_f64 v[126:127], v[154:155], v[150:151]
	v_add_f64 v[132:133], v[60:61], -v[156:157]
	;; [unrolled: 2-line block ×3, first 2 shown]
	v_add_f64 v[128:129], v[142:143], -v[160:161]
	v_add_f64 v[130:131], v[104:105], -v[102:103]
	;; [unrolled: 1-line block ×10, first 2 shown]
	v_add_f64 v[178:179], v[114:115], v[106:107]
	v_add_f64 v[110:111], v[116:117], v[110:111]
	v_add_f64 v[114:115], v[120:121], -v[114:115]
	v_add_f64 v[116:117], v[124:125], -v[116:117]
	v_add_f64 v[148:149], v[152:153], -v[148:149]
	v_add_f64 v[150:151], v[154:155], -v[150:151]
	v_add_f64 v[168:169], v[62:63], v[86:87]
	v_add_f64 v[170:171], v[160:161], v[100:101]
	v_add_f64 v[86:87], v[146:147], -v[142:143]
	v_add_f64 v[100:101], v[62:63], -v[144:145]
	v_add_f64 v[142:143], v[104:105], v[102:103]
	v_add_f64 v[126:127], v[118:119], v[126:127]
	v_add_f64 v[118:119], v[118:119], -v[154:155]
	v_mul_f64 v[106:107], v[132:133], s[18:19]
	v_add_f64 v[122:123], v[84:85], v[122:123]
	v_add_f64 v[84:85], v[144:145], -v[140:141]
	v_add_f64 v[140:141], v[108:109], v[60:61]
	v_add_f64 v[108:109], v[156:157], -v[108:109]
	v_add_f64 v[144:145], v[158:159], -v[104:105]
	v_mul_f64 v[112:113], v[112:113], s[10:11]
	v_mul_f64 v[128:129], v[128:129], s[10:11]
	;; [unrolled: 1-line block ×11, first 2 shown]
	s_mov_b32 s10, 0x5476071b
	s_mov_b32 s11, 0x3fe77f67
	;; [unrolled: 1-line block ×3, first 2 shown]
	v_add_f64 v[120:121], v[178:179], v[120:121]
	v_add_f64 v[124:125], v[110:111], v[124:125]
	;; [unrolled: 1-line block ×4, first 2 shown]
	v_mul_f64 v[92:93], v[176:177], s[16:17]
	v_add_f64 v[94:95], v[160:161], -v[146:147]
	s_mov_b32 s16, 0xb247c609
	v_add_f64 v[138:139], v[98:99], v[126:127]
	v_mul_f64 v[154:155], v[118:119], s[8:9]
	s_mov_b32 s17, 0x3fd5d0dc
	s_mov_b32 s24, s16
	v_add_f64 v[136:137], v[96:97], v[122:123]
	v_add_f64 v[98:99], v[142:143], v[158:159]
	;; [unrolled: 1-line block ×3, first 2 shown]
	v_fma_f64 v[158:159], v[108:109], s[24:25], -v[106:107]
	v_fma_f64 v[140:141], v[100:101], s[8:9], v[112:113]
	v_fma_f64 v[142:143], v[84:85], s[22:23], -v[112:113]
	v_fma_f64 v[146:147], v[86:87], s[22:23], -v[128:129]
	v_fma_f64 v[156:157], v[144:145], s[16:17], v[102:103]
	v_fma_f64 v[144:145], v[144:145], s[24:25], -v[104:105]
	v_fma_f64 v[160:161], v[174:175], s[8:9], v[130:131]
	v_fma_f64 v[174:175], v[114:115], s[16:17], v[132:133]
	v_fma_f64 v[176:177], v[116:117], s[16:17], v[134:135]
	v_fma_f64 v[132:133], v[164:165], s[18:19], -v[132:133]
	v_fma_f64 v[134:135], v[166:167], s[18:19], -v[134:135]
	;; [unrolled: 1-line block ×4, first 2 shown]
	v_fma_f64 v[166:167], v[118:119], s[8:9], v[172:173]
	v_fma_f64 v[130:131], v[148:149], s[22:23], -v[130:131]
	v_fma_f64 v[148:149], v[148:149], s[10:11], -v[152:153]
	v_fma_f64 v[110:111], v[168:169], s[20:21], v[60:61]
	v_fma_f64 v[112:113], v[170:171], s[20:21], v[62:63]
	v_fma_f64 v[170:171], v[150:151], s[22:23], -v[172:173]
	v_fma_f64 v[152:153], v[108:109], s[16:17], v[92:93]
	v_fma_f64 v[128:129], v[94:95], s[8:9], v[128:129]
	;; [unrolled: 1-line block ×3, first 2 shown]
	v_fma_f64 v[150:151], v[150:151], s[10:11], -v[154:155]
	s_mov_b32 s16, 0x37c3f68c
	s_mov_b32 s17, 0x3fdc38aa
	v_fma_f64 v[168:169], v[122:123], s[20:21], v[136:137]
	v_fma_f64 v[116:117], v[96:97], s[16:17], v[158:159]
	;; [unrolled: 1-line block ×10, first 2 shown]
	v_add_f64 v[120:121], v[142:143], v[110:111]
	v_add_f64 v[122:123], v[146:147], v[112:113]
	;; [unrolled: 1-line block ×3, first 2 shown]
	v_fma_f64 v[132:133], v[96:97], s[16:17], v[152:153]
	v_add_f64 v[134:135], v[128:129], v[112:113]
	v_add_f64 v[164:165], v[166:167], v[126:127]
	;; [unrolled: 1-line block ×7, first 2 shown]
	v_add_f64 v[128:129], v[120:121], -v[114:115]
	v_add_f64 v[130:131], v[116:117], v[122:123]
	v_add_f64 v[124:125], v[118:119], -v[108:109]
	v_add_f64 v[142:143], v[164:165], -v[172:173]
	;; [unrolled: 1-line block ×3, first 2 shown]
	v_add_f64 v[150:151], v[154:155], v[126:127]
	v_add_f64 v[154:155], v[126:127], -v[154:155]
	v_add_f64 v[126:127], v[132:133], v[134:135]
	v_add_f64 v[140:141], v[174:175], v[160:161]
	;; [unrolled: 1-line block ×3, first 2 shown]
	v_add_f64 v[148:149], v[168:169], -v[156:157]
	v_add_f64 v[152:153], v[156:157], v[168:169]
	v_add_f64 v[156:157], v[166:167], -v[162:163]
	v_add_f64 v[158:159], v[158:159], v[170:171]
	;; [unrolled: 2-line block ×3, first 2 shown]
	ds_store_b128 v76, v[136:139]
	ds_store_b128 v76, v[140:143] offset:544
	ds_store_b128 v76, v[144:147] offset:1088
	;; [unrolled: 1-line block ×6, first 2 shown]
	s_mov_b32 s1, exec_lo
	scratch_load_b128 v[16:19], off, off offset:16 ; 16-byte Folded Reload
	s_and_b32 s18, s1, s0
	s_delay_alu instid0(SALU_CYCLE_1)
	s_mov_b32 exec_lo, s18
	s_cbranch_execz .LBB0_11
; %bb.10:
	s_clause 0x1
	scratch_load_b32 v0, off, off offset:160
	scratch_load_b32 v1, off, off offset:168
	v_mul_f64 v[94:95], v[94:95], s[8:9]
	v_mul_f64 v[86:87], v[86:87], s[10:11]
	;; [unrolled: 1-line block ×6, first 2 shown]
	v_add_f64 v[92:93], v[106:107], -v[92:93]
	v_add_f64 v[86:87], v[86:87], -v[94:95]
	;; [unrolled: 1-line block ×4, first 2 shown]
	s_delay_alu instid0(VALU_DEP_4)
	v_add_f64 v[96:97], v[96:97], v[92:93]
	v_add_f64 v[92:93], v[108:109], v[118:119]
	;; [unrolled: 1-line block ×5, first 2 shown]
	v_add_f64 v[94:95], v[134:135], -v[132:133]
	v_add_f64 v[86:87], v[122:123], -v[116:117]
	v_add_f64 v[84:85], v[114:115], v[120:121]
	v_add_f64 v[98:99], v[100:101], -v[96:97]
	v_add_f64 v[102:103], v[96:97], v[100:101]
	;; [unrolled: 2-line block ×3, first 2 shown]
	s_waitcnt vmcnt(1)
	v_and_b32_e32 v0, 0xffff, v0
	s_delay_alu instid0(VALU_DEP_1) | instskip(SKIP_1) | instid1(VALU_DEP_1)
	v_mul_u32_u24_e32 v0, 0xee, v0
	s_waitcnt vmcnt(0)
	v_add_lshl_u32 v0, v0, v1, 4
	ds_store_b128 v0, v[60:63]
	ds_store_b128 v0, v[92:95] offset:544
	ds_store_b128 v0, v[84:87] offset:1088
	;; [unrolled: 1-line block ×6, first 2 shown]
.LBB0_11:
	s_or_b32 exec_lo, exec_lo, s1
	v_mad_u64_u32 v[84:85], null, 0x50, v212, s[2:3]
	scratch_store_b32 off, v212, off offset:8 ; 4-byte Folded Spill
	s_waitcnt vmcnt(0) lgkmcnt(0)
	s_waitcnt_vscnt null, 0x0
	s_barrier
	buffer_gl0_inv
	s_mov_b32 s2, 0xe8584caa
	s_mov_b32 s3, 0x3febb67a
	v_add_co_u32 v86, s1, 0x2530, v84
	s_clause 0x1
	global_load_b128 v[107:110], v[84:85], off offset:3568
	global_load_b128 v[0:3], v[84:85], off offset:3600
	v_add_co_ci_u32_e64 v87, s1, 0, v85, s1
	s_mov_b32 s9, 0xbfebb67a
	s_mov_b32 s8, s2
	s_clause 0x7
	global_load_b128 v[119:122], v[86:87], off offset:3568
	global_load_b128 v[12:15], v[86:87], off offset:3600
	;; [unrolled: 1-line block ×8, first 2 shown]
	ds_load_b128 v[132:135], v188 offset:11424
	ds_load_b128 v[136:139], v188 offset:19040
	;; [unrolled: 1-line block ×6, first 2 shown]
	s_waitcnt vmcnt(9) lgkmcnt(5)
	v_mul_f64 v[156:157], v[134:135], v[109:110]
	v_mul_f64 v[158:159], v[132:133], v[109:110]
	s_waitcnt vmcnt(8) lgkmcnt(4)
	v_mul_f64 v[160:161], v[136:137], v[2:3]
	v_mul_f64 v[162:163], v[138:139], v[2:3]
	;; [unrolled: 3-line block ×6, first 2 shown]
	s_clause 0x1
	scratch_store_b128 off, v[0:3], off offset:128
	scratch_store_b128 off, v[12:15], off offset:144
	v_fma_f64 v[156:157], v[132:133], v[107:108], -v[156:157]
	v_fma_f64 v[158:159], v[134:135], v[107:108], v[158:159]
	v_fma_f64 v[160:161], v[138:139], v[0:1], v[160:161]
	v_fma_f64 v[162:163], v[136:137], v[0:1], -v[162:163]
	v_fma_f64 v[164:165], v[140:141], v[119:120], -v[164:165]
	v_fma_f64 v[166:167], v[142:143], v[119:120], v[166:167]
	v_fma_f64 v[168:169], v[146:147], v[12:13], v[168:169]
	v_fma_f64 v[170:171], v[144:145], v[12:13], -v[170:171]
	ds_load_b128 v[132:135], v188 offset:7616
	ds_load_b128 v[136:139], v188 offset:15232
	;; [unrolled: 1-line block ×4, first 2 shown]
	v_fma_f64 v[148:149], v[148:149], v[103:104], -v[172:173]
	v_fma_f64 v[150:151], v[150:151], v[103:104], v[174:175]
	v_fma_f64 v[152:153], v[152:153], v[91:92], -v[176:177]
	v_fma_f64 v[154:155], v[154:155], v[91:92], v[178:179]
	s_waitcnt vmcnt(3) lgkmcnt(3)
	v_mul_f64 v[180:181], v[134:135], v[117:118]
	v_mul_f64 v[182:183], v[132:133], v[117:118]
	s_waitcnt vmcnt(2) lgkmcnt(2)
	v_mul_f64 v[184:185], v[138:139], v[113:114]
	v_mul_f64 v[186:187], v[136:137], v[113:114]
	;; [unrolled: 3-line block ×4, first 2 shown]
	v_add_f64 v[172:173], v[158:159], v[160:161]
	v_add_f64 v[174:175], v[156:157], v[162:163]
	;; [unrolled: 1-line block ×4, first 2 shown]
	v_fma_f64 v[180:181], v[132:133], v[115:116], -v[180:181]
	v_fma_f64 v[182:183], v[134:135], v[115:116], v[182:183]
	v_fma_f64 v[184:185], v[136:137], v[111:112], -v[184:185]
	v_fma_f64 v[186:187], v[138:139], v[111:112], v[186:187]
	v_add_f64 v[132:133], v[158:159], -v[160:161]
	v_add_f64 v[134:135], v[156:157], -v[162:163]
	v_fma_f64 v[140:141], v[140:141], v[99:100], -v[189:190]
	v_fma_f64 v[142:143], v[142:143], v[99:100], v[191:192]
	v_fma_f64 v[144:145], v[144:145], v[95:96], -v[193:194]
	v_fma_f64 v[146:147], v[146:147], v[95:96], v[195:196]
	v_fma_f64 v[136:137], v[172:173], -0.5, v[150:151]
	v_fma_f64 v[138:139], v[174:175], -0.5, v[148:149]
	v_add_f64 v[172:173], v[166:167], -v[168:169]
	v_add_f64 v[174:175], v[164:165], -v[170:171]
	v_fma_f64 v[176:177], v[176:177], -0.5, v[154:155]
	v_fma_f64 v[178:179], v[178:179], -0.5, v[152:153]
	v_add_f64 v[148:149], v[148:149], v[156:157]
	v_add_f64 v[150:151], v[150:151], v[158:159]
	v_add_f64 v[152:153], v[152:153], v[164:165]
	v_add_f64 v[154:155], v[154:155], v[166:167]
	v_add_f64 v[189:190], v[180:181], v[184:185]
	v_add_f64 v[191:192], v[182:183], v[186:187]
	v_add_f64 v[164:165], v[180:181], -v[184:185]
	v_add_f64 v[201:202], v[140:141], v[144:145]
	v_add_f64 v[203:204], v[142:143], v[146:147]
	v_fma_f64 v[193:194], v[134:135], s[8:9], v[136:137]
	v_fma_f64 v[195:196], v[132:133], s[8:9], v[138:139]
	;; [unrolled: 1-line block ×8, first 2 shown]
	ds_load_b128 v[132:135], v188
	ds_load_b128 v[136:139], v188 offset:1904
	v_add_f64 v[178:179], v[182:183], -v[186:187]
	v_add_f64 v[148:149], v[148:149], v[162:163]
	v_add_f64 v[150:151], v[150:151], v[160:161]
	;; [unrolled: 1-line block ×4, first 2 shown]
	s_waitcnt lgkmcnt(1)
	v_add_f64 v[176:177], v[132:133], v[180:181]
	v_add_f64 v[182:183], v[134:135], v[182:183]
	s_waitcnt lgkmcnt(0)
	v_add_f64 v[156:157], v[136:137], v[140:141]
	v_add_f64 v[158:159], v[138:139], v[142:143]
	v_fma_f64 v[132:133], v[189:190], -0.5, v[132:133]
	v_fma_f64 v[134:135], v[191:192], -0.5, v[134:135]
	v_add_f64 v[142:143], v[142:143], -v[146:147]
	v_fma_f64 v[136:137], v[201:202], -0.5, v[136:137]
	v_add_f64 v[140:141], v[140:141], -v[144:145]
	v_fma_f64 v[138:139], v[203:204], -0.5, v[138:139]
	v_mul_f64 v[166:167], v[193:194], s[2:3]
	v_mul_f64 v[180:181], v[195:196], -0.5
	v_mul_f64 v[189:190], v[197:198], s[8:9]
	v_mul_f64 v[191:192], v[199:200], -0.5
	v_mul_f64 v[201:202], v[205:206], s[2:3]
	v_mul_f64 v[203:204], v[207:208], s[8:9]
	v_mul_f64 v[209:210], v[172:173], -0.5
	v_mul_f64 v[211:212], v[174:175], -0.5
	v_add_f64 v[176:177], v[176:177], v[184:185]
	v_add_f64 v[182:183], v[182:183], v[186:187]
	;; [unrolled: 1-line block ×4, first 2 shown]
	v_fma_f64 v[184:185], v[178:179], s[2:3], v[132:133]
	v_fma_f64 v[178:179], v[178:179], s[8:9], v[132:133]
	;; [unrolled: 1-line block ×4, first 2 shown]
	v_fma_f64 v[166:167], v[197:198], 0.5, v[166:167]
	v_fma_f64 v[180:181], v[199:200], s[2:3], v[180:181]
	v_fma_f64 v[189:190], v[193:194], 0.5, v[189:190]
	v_fma_f64 v[191:192], v[195:196], s[8:9], v[191:192]
	v_fma_f64 v[193:194], v[142:143], s[2:3], v[136:137]
	;; [unrolled: 1-line block ×5, first 2 shown]
	v_fma_f64 v[140:141], v[207:208], 0.5, v[201:202]
	v_fma_f64 v[195:196], v[205:206], 0.5, v[203:204]
	v_fma_f64 v[197:198], v[174:175], s[2:3], v[209:210]
	v_fma_f64 v[199:200], v[172:173], s[8:9], v[211:212]
	v_add_f64 v[132:133], v[176:177], v[148:149]
	v_add_f64 v[134:135], v[182:183], v[150:151]
	v_add_f64 v[160:161], v[176:177], -v[148:149]
	v_add_f64 v[162:163], v[182:183], -v[150:151]
	v_add_f64 v[172:173], v[144:145], v[152:153]
	v_add_f64 v[174:175], v[146:147], v[154:155]
	v_add_f64 v[152:153], v[144:145], -v[152:153]
	v_add_f64 v[154:155], v[146:147], -v[154:155]
	v_add_f64 v[156:157], v[184:185], v[166:167]
	v_add_f64 v[168:169], v[178:179], v[180:181]
	;; [unrolled: 1-line block ×4, first 2 shown]
	v_add_f64 v[176:177], v[184:185], -v[166:167]
	v_add_f64 v[184:185], v[178:179], -v[180:181]
	;; [unrolled: 1-line block ×4, first 2 shown]
	v_add_f64 v[180:181], v[193:194], v[140:141]
	v_add_f64 v[182:183], v[142:143], v[195:196]
	;; [unrolled: 1-line block ×4, first 2 shown]
	v_add_f64 v[148:149], v[193:194], -v[140:141]
	v_add_f64 v[150:151], v[142:143], -v[195:196]
	;; [unrolled: 1-line block ×4, first 2 shown]
	ds_store_b128 v188, v[132:135]
	ds_store_b128 v188, v[172:175] offset:1904
	ds_store_b128 v188, v[160:163] offset:11424
	;; [unrolled: 1-line block ×11, first 2 shown]
	s_waitcnt lgkmcnt(0)
	s_waitcnt_vscnt null, 0x0
	s_barrier
	buffer_gl0_inv
	s_and_saveexec_b32 s2, vcc_lo
	s_cbranch_execz .LBB0_13
; %bb.12:
	v_add_co_u32 v140, s1, s12, v255
	s_delay_alu instid0(VALU_DEP_1) | instskip(NEXT) | instid1(VALU_DEP_2)
	v_add_co_ci_u32_e64 v141, null, s13, 0, s1
	v_add_co_u32 v136, s1, 0x5000, v140
	s_delay_alu instid0(VALU_DEP_1) | instskip(SKIP_1) | instid1(VALU_DEP_1)
	v_add_co_ci_u32_e64 v137, s1, 0, v141, s1
	v_add_co_u32 v142, s1, 0x5940, v140
	v_add_co_ci_u32_e64 v143, s1, 0, v141, s1
	s_clause 0x3
	global_load_b128 v[136:139], v[136:137], off offset:2368
	global_load_b128 v[189:192], v[142:143], off offset:1344
	;; [unrolled: 1-line block ×4, first 2 shown]
	v_add_co_u32 v142, s1, 0x6000, v140
	s_delay_alu instid0(VALU_DEP_1) | instskip(SKIP_3) | instid1(VALU_DEP_1)
	v_add_co_ci_u32_e64 v143, s1, 0, v141, s1
	ds_load_b128 v[209:212], v188
	global_load_b128 v[201:204], v[142:143], off offset:3648
	v_add_co_u32 v142, s1, 0x7000, v140
	v_add_co_ci_u32_e64 v143, s1, 0, v141, s1
	global_load_b128 v[205:208], v[142:143], off offset:896
	s_waitcnt vmcnt(5) lgkmcnt(0)
	v_mul_f64 v[213:214], v[211:212], v[138:139]
	v_mul_f64 v[138:139], v[209:210], v[138:139]
	s_delay_alu instid0(VALU_DEP_2) | instskip(NEXT) | instid1(VALU_DEP_2)
	v_fma_f64 v[209:210], v[209:210], v[136:137], -v[213:214]
	v_fma_f64 v[211:212], v[211:212], v[136:137], v[138:139]
	ds_store_b128 v188, v[209:212]
	ds_load_b128 v[136:139], v255 offset:1344
	ds_load_b128 v[209:212], v255 offset:2688
	s_waitcnt vmcnt(4) lgkmcnt(1)
	v_mul_f64 v[213:214], v[138:139], v[191:192]
	v_mul_f64 v[191:192], v[136:137], v[191:192]
	s_waitcnt vmcnt(3) lgkmcnt(0)
	v_mul_f64 v[217:218], v[211:212], v[195:196]
	v_mul_f64 v[195:196], v[209:210], v[195:196]
	s_delay_alu instid0(VALU_DEP_4) | instskip(NEXT) | instid1(VALU_DEP_4)
	v_fma_f64 v[136:137], v[136:137], v[189:190], -v[213:214]
	v_fma_f64 v[138:139], v[138:139], v[189:190], v[191:192]
	ds_load_b128 v[189:192], v255 offset:4032
	ds_load_b128 v[213:216], v255 offset:5376
	v_fma_f64 v[209:210], v[209:210], v[193:194], -v[217:218]
	v_fma_f64 v[211:212], v[211:212], v[193:194], v[195:196]
	s_waitcnt vmcnt(2) lgkmcnt(1)
	v_mul_f64 v[193:194], v[191:192], v[199:200]
	v_mul_f64 v[195:196], v[189:190], v[199:200]
	s_waitcnt vmcnt(1) lgkmcnt(0)
	v_mul_f64 v[217:218], v[215:216], v[203:204]
	v_mul_f64 v[203:204], v[213:214], v[203:204]
	s_delay_alu instid0(VALU_DEP_4) | instskip(NEXT) | instid1(VALU_DEP_4)
	v_fma_f64 v[189:190], v[189:190], v[197:198], -v[193:194]
	v_fma_f64 v[191:192], v[191:192], v[197:198], v[195:196]
	ds_load_b128 v[197:200], v255 offset:6720
	global_load_b128 v[193:196], v[142:143], off offset:2240
	v_fma_f64 v[213:214], v[213:214], v[201:202], -v[217:218]
	v_fma_f64 v[215:216], v[215:216], v[201:202], v[203:204]
	ds_load_b128 v[201:204], v255 offset:8064
	s_waitcnt vmcnt(1) lgkmcnt(1)
	v_mul_f64 v[217:218], v[199:200], v[207:208]
	v_mul_f64 v[207:208], v[197:198], v[207:208]
	s_delay_alu instid0(VALU_DEP_2) | instskip(NEXT) | instid1(VALU_DEP_2)
	v_fma_f64 v[197:198], v[197:198], v[205:206], -v[217:218]
	v_fma_f64 v[199:200], v[199:200], v[205:206], v[207:208]
	global_load_b128 v[205:208], v[142:143], off offset:3584
	s_waitcnt vmcnt(1) lgkmcnt(0)
	v_mul_f64 v[142:143], v[203:204], v[195:196]
	v_mul_f64 v[195:196], v[201:202], v[195:196]
	s_delay_alu instid0(VALU_DEP_2) | instskip(NEXT) | instid1(VALU_DEP_2)
	v_fma_f64 v[201:202], v[201:202], v[193:194], -v[142:143]
	v_fma_f64 v[203:204], v[203:204], v[193:194], v[195:196]
	ds_load_b128 v[193:196], v255 offset:9408
	ds_load_b128 v[217:220], v255 offset:10752
	s_waitcnt vmcnt(0) lgkmcnt(1)
	v_mul_f64 v[142:143], v[195:196], v[207:208]
	v_mul_f64 v[207:208], v[193:194], v[207:208]
	s_delay_alu instid0(VALU_DEP_2) | instskip(SKIP_1) | instid1(VALU_DEP_1)
	v_fma_f64 v[193:194], v[193:194], v[205:206], -v[142:143]
	v_add_co_u32 v142, s1, 0x8000, v140
	v_add_co_ci_u32_e64 v143, s1, 0, v141, s1
	s_delay_alu instid0(VALU_DEP_4) | instskip(SKIP_4) | instid1(VALU_DEP_1)
	v_fma_f64 v[195:196], v[195:196], v[205:206], v[207:208]
	s_clause 0x1
	global_load_b128 v[205:208], v[142:143], off offset:832
	global_load_b128 v[221:224], v[142:143], off offset:2176
	v_add_co_u32 v241, s1, 0x9000, v140
	v_add_co_ci_u32_e64 v242, s1, 0, v141, s1
	s_waitcnt vmcnt(1) lgkmcnt(0)
	v_mul_f64 v[225:226], v[219:220], v[207:208]
	v_mul_f64 v[207:208], v[217:218], v[207:208]
	s_delay_alu instid0(VALU_DEP_2) | instskip(NEXT) | instid1(VALU_DEP_2)
	v_fma_f64 v[217:218], v[217:218], v[205:206], -v[225:226]
	v_fma_f64 v[219:220], v[219:220], v[205:206], v[207:208]
	ds_load_b128 v[205:208], v255 offset:12096
	ds_load_b128 v[225:228], v255 offset:13440
	s_waitcnt vmcnt(0) lgkmcnt(1)
	v_mul_f64 v[229:230], v[207:208], v[223:224]
	v_mul_f64 v[223:224], v[205:206], v[223:224]
	s_delay_alu instid0(VALU_DEP_2) | instskip(NEXT) | instid1(VALU_DEP_2)
	v_fma_f64 v[205:206], v[205:206], v[221:222], -v[229:230]
	v_fma_f64 v[207:208], v[207:208], v[221:222], v[223:224]
	s_clause 0x1
	global_load_b128 v[221:224], v[142:143], off offset:3520
	global_load_b128 v[229:232], v[241:242], off offset:768
	s_waitcnt vmcnt(1) lgkmcnt(0)
	v_mul_f64 v[142:143], v[227:228], v[223:224]
	v_mul_f64 v[233:234], v[225:226], v[223:224]
	s_delay_alu instid0(VALU_DEP_2) | instskip(NEXT) | instid1(VALU_DEP_2)
	v_fma_f64 v[223:224], v[225:226], v[221:222], -v[142:143]
	v_fma_f64 v[225:226], v[227:228], v[221:222], v[233:234]
	ds_load_b128 v[233:236], v255 offset:14784
	ds_load_b128 v[237:240], v255 offset:16128
	s_waitcnt vmcnt(0) lgkmcnt(1)
	v_mul_f64 v[142:143], v[235:236], v[231:232]
	v_mul_f64 v[221:222], v[233:234], v[231:232]
	s_delay_alu instid0(VALU_DEP_2)
	v_fma_f64 v[227:228], v[233:234], v[229:230], -v[142:143]
	s_clause 0x1
	global_load_b128 v[231:234], v[241:242], off offset:2112
	global_load_b128 v[241:244], v[241:242], off offset:3456
	v_fma_f64 v[229:230], v[235:236], v[229:230], v[221:222]
	s_waitcnt vmcnt(1) lgkmcnt(0)
	v_mul_f64 v[142:143], v[239:240], v[233:234]
	v_mul_f64 v[221:222], v[237:238], v[233:234]
	s_delay_alu instid0(VALU_DEP_2) | instskip(NEXT) | instid1(VALU_DEP_2)
	v_fma_f64 v[233:234], v[237:238], v[231:232], -v[142:143]
	v_fma_f64 v[235:236], v[239:240], v[231:232], v[221:222]
	ds_load_b128 v[237:240], v255 offset:17472
	ds_load_b128 v[245:248], v255 offset:18816
	s_waitcnt vmcnt(0) lgkmcnt(1)
	v_mul_f64 v[221:222], v[237:238], v[243:244]
	v_mul_f64 v[142:143], v[239:240], v[243:244]
	s_delay_alu instid0(VALU_DEP_2) | instskip(SKIP_1) | instid1(VALU_DEP_1)
	v_fma_f64 v[239:240], v[239:240], v[241:242], v[221:222]
	v_add_co_u32 v221, s1, 0xa000, v140
	v_add_co_ci_u32_e64 v222, s1, 0, v141, s1
	s_delay_alu instid0(VALU_DEP_4)
	v_fma_f64 v[237:238], v[237:238], v[241:242], -v[142:143]
	s_clause 0x1
	global_load_b128 v[140:143], v[221:222], off offset:704
	global_load_b128 v[241:244], v[221:222], off offset:2048
	s_waitcnt vmcnt(1) lgkmcnt(0)
	v_mul_f64 v[231:232], v[247:248], v[142:143]
	v_mul_f64 v[142:143], v[245:246], v[142:143]
	s_delay_alu instid0(VALU_DEP_2) | instskip(NEXT) | instid1(VALU_DEP_2)
	v_fma_f64 v[245:246], v[245:246], v[140:141], -v[231:232]
	v_fma_f64 v[247:248], v[247:248], v[140:141], v[142:143]
	ds_load_b128 v[140:143], v255 offset:20160
	ds_load_b128 v[250:253], v255 offset:21504
	s_waitcnt vmcnt(0) lgkmcnt(1)
	v_mul_f64 v[231:232], v[142:143], v[243:244]
	v_mul_f64 v[243:244], v[140:141], v[243:244]
	s_delay_alu instid0(VALU_DEP_2) | instskip(NEXT) | instid1(VALU_DEP_2)
	v_fma_f64 v[140:141], v[140:141], v[241:242], -v[231:232]
	v_fma_f64 v[142:143], v[142:143], v[241:242], v[243:244]
	global_load_b128 v[241:244], v[221:222], off offset:3392
	s_waitcnt vmcnt(0) lgkmcnt(0)
	v_mul_f64 v[221:222], v[252:253], v[243:244]
	v_mul_f64 v[231:232], v[250:251], v[243:244]
	s_delay_alu instid0(VALU_DEP_2) | instskip(NEXT) | instid1(VALU_DEP_2)
	v_fma_f64 v[250:251], v[250:251], v[241:242], -v[221:222]
	v_fma_f64 v[252:253], v[252:253], v[241:242], v[231:232]
	ds_store_b128 v255, v[136:139] offset:1344
	ds_store_b128 v255, v[209:212] offset:2688
	;; [unrolled: 1-line block ×16, first 2 shown]
.LBB0_13:
	s_or_b32 exec_lo, exec_lo, s2
	s_waitcnt lgkmcnt(0)
	s_barrier
	buffer_gl0_inv
	s_and_saveexec_b32 s1, vcc_lo
	s_cbranch_execz .LBB0_15
; %bb.14:
	ds_load_b128 v[132:135], v188
	ds_load_b128 v[156:159], v188 offset:1344
	ds_load_b128 v[168:171], v188 offset:2688
	;; [unrolled: 1-line block ×16, first 2 shown]
.LBB0_15:
	s_or_b32 exec_lo, exec_lo, s1
	s_waitcnt lgkmcnt(0)
	v_add_f64 v[0:1], v[158:159], -v[18:19]
	s_mov_b32 s10, 0xeb564b22
	s_mov_b32 s11, 0xbfefdd0d
	v_add_f64 v[251:252], v[156:157], v[16:17]
	v_add_f64 v[2:3], v[170:171], -v[6:7]
	s_mov_b32 s2, 0x3259b75e
	s_mov_b32 s16, 0xacd6c6b4
	s_mov_b32 s3, 0x3fb79ee6
	s_mov_b32 s17, 0xbfc7851a
	v_add_f64 v[84:85], v[168:169], v[4:5]
	v_add_f64 v[245:246], v[158:159], v[18:19]
	s_mov_b32 s8, 0x7faef3
	s_mov_b32 s9, 0xbfef7484
	v_add_f64 v[253:254], v[156:157], -v[16:17]
	v_add_f64 v[40:41], v[170:171], v[6:7]
	v_add_f64 v[24:25], v[168:169], -v[4:5]
	v_add_f64 v[22:23], v[162:163], -v[10:11]
	s_mov_b32 s30, 0x923c349f
	s_mov_b32 s31, 0xbfeec746
	;; [unrolled: 1-line block ×4, first 2 shown]
	v_add_f64 v[193:194], v[160:161], v[8:9]
	v_add_f64 v[28:29], v[162:163], v[10:11]
	s_mov_b32 s18, 0xc61f0d01
	s_mov_b32 s19, 0xbfd183b1
	v_add_f64 v[30:31], v[160:161], -v[8:9]
	v_add_f64 v[26:27], v[178:179], -v[126:127]
	s_mov_b32 s24, 0x5d8e7cdc
	s_mov_b32 s25, 0x3fd71e95
	v_add_f64 v[195:196], v[176:177], v[124:125]
	v_add_f64 v[62:63], v[178:179], v[126:127]
	s_mov_b32 s22, 0x370991
	s_mov_b32 s23, 0x3fedd6d0
	v_add_f64 v[34:35], v[176:177], -v[124:125]
	v_add_f64 v[32:33], v[186:187], -v[130:131]
	s_mov_b32 s46, 0x7c9e640b
	s_mov_b32 s47, 0xbfeca52d
	v_add_f64 v[197:198], v[184:185], v[128:129]
	v_mul_f64 v[217:218], v[0:1], s[10:11]
	v_add_f64 v[64:65], v[186:187], v[130:131]
	s_mov_b32 s26, 0x2b2883cd
	s_mov_b32 s27, 0x3fdc86fa
	v_mul_f64 v[209:210], v[2:3], s[16:17]
	v_add_f64 v[38:39], v[184:185], -v[128:129]
	v_add_f64 v[36:37], v[174:175], -v[146:147]
	s_mov_b32 s49, 0xbfe0d888
	s_mov_b32 s48, s36
	v_add_f64 v[199:200], v[172:173], v[144:145]
	v_mul_f64 v[12:13], v[245:246], s[2:3]
	v_add_f64 v[86:87], v[174:175], v[146:147]
	s_mov_b32 s28, 0x910ea3b9
	s_mov_b32 s29, 0xbfeb34fa
	v_mul_f64 v[211:212], v[40:41], s[8:9]
	v_add_f64 v[42:43], v[172:173], -v[144:145]
	v_mul_f64 v[213:214], v[22:23], s[20:21]
	v_add_f64 v[20:21], v[182:183], -v[150:151]
	s_mov_b32 s42, 0x6c9a05f6
	s_mov_b32 s43, 0x3fe9895b
	v_add_f64 v[201:202], v[180:181], v[148:149]
	v_add_f64 v[189:190], v[182:183], v[150:151]
	v_mul_f64 v[221:222], v[28:29], s[18:19]
	s_mov_b32 s34, 0x6ed5f1bb
	s_mov_b32 s35, 0xbfe348c8
	v_add_f64 v[205:206], v[180:181], -v[148:149]
	v_mul_f64 v[215:216], v[26:27], s[24:25]
	v_add_f64 v[81:82], v[166:167], -v[154:155]
	s_mov_b32 s44, 0x2a9d6da3
	s_mov_b32 s45, 0x3fe58eea
	v_mul_f64 v[229:230], v[62:63], s[22:23]
	v_add_f64 v[203:204], v[164:165], v[152:153]
	v_add_f64 v[191:192], v[166:167], v[154:155]
	s_mov_b32 s38, 0x75d4884
	v_mul_f64 v[225:226], v[32:33], s[46:47]
	s_mov_b32 s39, 0x3fe7a5f6
	v_add_f64 v[207:208], v[164:165], -v[152:153]
	v_mul_f64 v[223:224], v[2:3], s[36:37]
	v_fma_f64 v[136:137], v[251:252], s[2:3], -v[217:218]
	v_mul_f64 v[241:242], v[64:65], s[26:27]
	v_mul_f64 v[77:78], v[40:41], s[28:29]
	v_mul_f64 v[231:232], v[22:23], s[44:45]
	v_fma_f64 v[138:139], v[84:85], s[8:9], -v[209:210]
	v_mul_f64 v[239:240], v[26:27], s[46:47]
	v_mul_f64 v[243:244], v[36:37], s[48:49]
	;; [unrolled: 1-line block ×5, first 2 shown]
	scratch_store_b64 off, v[12:13], off offset:320 ; 8-byte Folded Spill
	v_mul_f64 v[227:228], v[86:87], s[28:29]
	v_mul_f64 v[66:67], v[86:87], s[2:3]
	s_mov_b32 s53, 0x3fefdd0d
	v_fma_f64 v[140:141], v[24:25], s[16:17], v[211:212]
	s_mov_b32 s52, s10
	s_mov_b32 s51, 0xbfd71e95
	v_mul_f64 v[249:250], v[36:37], s[52:53]
	s_mov_b32 s50, s24
	s_mov_b32 s41, 0xbfe9895b
	;; [unrolled: 1-line block ×3, first 2 shown]
	v_mul_f64 v[235:236], v[189:190], s[34:35]
	v_mul_f64 v[233:234], v[81:82], s[44:45]
	scratch_store_b64 off, v[81:82], off offset:288 ; 8-byte Folded Spill
	v_mul_f64 v[81:82], v[81:82], s[40:41]
	v_mul_f64 v[247:248], v[191:192], s[38:39]
	v_fma_f64 v[142:143], v[84:85], s[28:29], -v[223:224]
	v_add_f64 v[136:137], v[132:133], v[136:137]
	v_fma_f64 v[14:15], v[193:194], s[38:39], -v[231:232]
	s_delay_alu instid0(VALU_DEP_2) | instskip(SKIP_2) | instid1(VALU_DEP_2)
	v_add_f64 v[136:137], v[138:139], v[136:137]
	v_fma_f64 v[138:139], v[253:254], s[10:11], v[12:13]
	v_mul_f64 v[12:13], v[20:21], s[42:43]
	v_add_f64 v[138:139], v[134:135], v[138:139]
	s_clause 0x2
	scratch_store_b64 off, v[12:13], off offset:16
	scratch_store_b64 off, v[2:3], off offset:336
	;; [unrolled: 1-line block ×3, first 2 shown]
	v_mul_f64 v[2:3], v[245:246], s[18:19]
	v_add_f64 v[138:139], v[140:141], v[138:139]
	v_fma_f64 v[140:141], v[193:194], s[18:19], -v[213:214]
	s_delay_alu instid0(VALU_DEP_3) | instskip(NEXT) | instid1(VALU_DEP_2)
	v_dual_mov_b32 v80, v3 :: v_dual_mov_b32 v79, v2
	v_add_f64 v[136:137], v[140:141], v[136:137]
	v_fma_f64 v[140:141], v[30:31], s[20:21], v[221:222]
	s_delay_alu instid0(VALU_DEP_1) | instskip(SKIP_1) | instid1(VALU_DEP_1)
	v_add_f64 v[138:139], v[140:141], v[138:139]
	v_fma_f64 v[140:141], v[195:196], s[22:23], -v[215:216]
	v_add_f64 v[136:137], v[140:141], v[136:137]
	v_fma_f64 v[140:141], v[34:35], s[24:25], v[229:230]
	s_delay_alu instid0(VALU_DEP_1) | instskip(SKIP_1) | instid1(VALU_DEP_1)
	v_add_f64 v[138:139], v[140:141], v[138:139]
	v_fma_f64 v[140:141], v[197:198], s[26:27], -v[225:226]
	;; [unrolled: 5-line block ×3, first 2 shown]
	v_add_f64 v[136:137], v[140:141], v[136:137]
	v_fma_f64 v[140:141], v[42:43], s[48:49], v[227:228]
	s_delay_alu instid0(VALU_DEP_1) | instskip(SKIP_2) | instid1(VALU_DEP_2)
	v_add_f64 v[138:139], v[140:141], v[138:139]
	v_fma_f64 v[140:141], v[201:202], s[34:35], -v[12:13]
	v_mul_f64 v[12:13], v[0:1], s[30:31]
	v_add_f64 v[136:137], v[140:141], v[136:137]
	v_fma_f64 v[140:141], v[205:206], s[42:43], v[235:236]
	scratch_store_b64 off, v[12:13], off offset:344 ; 8-byte Folded Spill
	v_add_f64 v[138:139], v[140:141], v[138:139]
	v_fma_f64 v[140:141], v[203:204], s[38:39], -v[233:234]
	s_delay_alu instid0(VALU_DEP_1) | instskip(SKIP_1) | instid1(VALU_DEP_1)
	v_add_f64 v[136:137], v[140:141], v[136:137]
	v_fma_f64 v[140:141], v[207:208], s[44:45], v[247:248]
	v_add_f64 v[138:139], v[140:141], v[138:139]
	v_fma_f64 v[140:141], v[251:252], s[18:19], -v[12:13]
	v_fma_f64 v[12:13], v[24:25], s[36:37], v[77:78]
	s_delay_alu instid0(VALU_DEP_2) | instskip(NEXT) | instid1(VALU_DEP_1)
	v_add_f64 v[140:141], v[132:133], v[140:141]
	v_add_f64 v[140:141], v[142:143], v[140:141]
	v_fma_f64 v[142:143], v[253:254], s[30:31], v[2:3]
	v_mul_f64 v[2:3], v[28:29], s[38:39]
	s_delay_alu instid0(VALU_DEP_3) | instskip(NEXT) | instid1(VALU_DEP_3)
	v_add_f64 v[14:15], v[14:15], v[140:141]
	v_add_f64 v[142:143], v[134:135], v[142:143]
	s_delay_alu instid0(VALU_DEP_3) | instskip(NEXT) | instid1(VALU_DEP_2)
	v_fma_f64 v[140:141], v[30:31], s[44:45], v[2:3]
	v_add_f64 v[12:13], v[12:13], v[142:143]
	s_delay_alu instid0(VALU_DEP_1) | instskip(SKIP_1) | instid1(VALU_DEP_1)
	v_add_f64 v[12:13], v[140:141], v[12:13]
	v_fma_f64 v[140:141], v[195:196], s[26:27], -v[239:240]
	v_add_f64 v[14:15], v[140:141], v[14:15]
	v_fma_f64 v[140:141], v[34:35], s[46:47], v[60:61]
	s_delay_alu instid0(VALU_DEP_1) | instskip(SKIP_1) | instid1(VALU_DEP_1)
	v_add_f64 v[12:13], v[140:141], v[12:13]
	v_fma_f64 v[140:141], v[197:198], s[8:9], -v[237:238]
	v_add_f64 v[14:15], v[140:141], v[14:15]
	v_fma_f64 v[140:141], v[38:39], s[16:17], v[219:220]
	;; [unrolled: 5-line block ×3, first 2 shown]
	v_mul_f64 v[66:67], v[20:21], s[50:51]
	s_delay_alu instid0(VALU_DEP_2) | instskip(NEXT) | instid1(VALU_DEP_2)
	v_add_f64 v[12:13], v[140:141], v[12:13]
	v_fma_f64 v[140:141], v[201:202], s[22:23], -v[66:67]
	s_delay_alu instid0(VALU_DEP_1) | instskip(SKIP_3) | instid1(VALU_DEP_1)
	v_add_f64 v[14:15], v[140:141], v[14:15]
	v_mul_f64 v[140:141], v[189:190], s[22:23]
	scratch_store_b64 off, v[140:141], off offset:312 ; 8-byte Folded Spill
	v_fma_f64 v[140:141], v[205:206], s[50:51], v[140:141]
	v_add_f64 v[12:13], v[140:141], v[12:13]
	v_fma_f64 v[140:141], v[203:204], s[34:35], -v[81:82]
	s_delay_alu instid0(VALU_DEP_1)
	v_add_f64 v[140:141], v[140:141], v[14:15]
	v_mul_f64 v[14:15], v[191:192], s[34:35]
	scratch_store_b64 off, v[14:15], off offset:296 ; 8-byte Folded Spill
	v_fma_f64 v[14:15], v[207:208], s[40:41], v[14:15]
	s_waitcnt_vscnt null, 0x0
	s_barrier
	buffer_gl0_inv
	v_add_f64 v[142:143], v[14:15], v[12:13]
	s_and_saveexec_b32 s1, vcc_lo
	s_cbranch_execz .LBB0_17
; %bb.16:
	v_add_f64 v[14:15], v[132:133], v[156:157]
	v_add_f64 v[12:13], v[134:135], v[158:159]
	v_mul_f64 v[158:159], v[0:1], s[48:49]
	s_mov_b32 s57, 0xbfe58eea
	s_mov_b32 s56, s44
	v_mul_f64 v[156:157], v[0:1], s[16:17]
	s_mov_b32 s55, 0x3feca52d
	s_mov_b32 s54, s46
	;; [unrolled: 1-line block ×4, first 2 shown]
	scratch_store_b32 off, v89, off offset:352 ; 4-byte Folded Spill
	v_add_f64 v[14:15], v[14:15], v[168:169]
	v_add_f64 v[12:13], v[12:13], v[170:171]
	v_fma_f64 v[170:171], v[251:252], s[28:29], -v[158:159]
	v_fma_f64 v[158:159], v[251:252], s[28:29], v[158:159]
	v_fma_f64 v[168:169], v[251:252], s[8:9], -v[156:157]
	v_fma_f64 v[156:157], v[251:252], s[8:9], v[156:157]
	v_add_f64 v[14:15], v[14:15], v[160:161]
	v_add_f64 v[12:13], v[12:13], v[162:163]
	v_mul_f64 v[160:161], v[0:1], s[40:41]
	v_mul_f64 v[162:163], v[0:1], s[46:47]
	v_add_f64 v[158:159], v[132:133], v[158:159]
	v_add_f64 v[168:169], v[132:133], v[168:169]
	;; [unrolled: 1-line block ×5, first 2 shown]
	s_delay_alu instid0(VALU_DEP_2) | instskip(NEXT) | instid1(VALU_DEP_2)
	v_add_f64 v[14:15], v[14:15], v[184:185]
	v_add_f64 v[12:13], v[12:13], v[186:187]
	s_delay_alu instid0(VALU_DEP_2) | instskip(NEXT) | instid1(VALU_DEP_2)
	v_add_f64 v[14:15], v[14:15], v[172:173]
	v_add_f64 v[12:13], v[12:13], v[174:175]
	v_fma_f64 v[172:173], v[251:252], s[34:35], -v[160:161]
	v_fma_f64 v[174:175], v[251:252], s[26:27], -v[162:163]
	v_fma_f64 v[160:161], v[251:252], s[34:35], v[160:161]
	v_fma_f64 v[162:163], v[251:252], s[26:27], v[162:163]
	v_add_f64 v[14:15], v[14:15], v[180:181]
	v_add_f64 v[12:13], v[12:13], v[182:183]
	s_delay_alu instid0(VALU_DEP_4) | instskip(NEXT) | instid1(VALU_DEP_4)
	v_add_f64 v[160:161], v[132:133], v[160:161]
	v_add_f64 v[162:163], v[132:133], v[162:163]
	s_delay_alu instid0(VALU_DEP_4) | instskip(NEXT) | instid1(VALU_DEP_4)
	v_add_f64 v[14:15], v[14:15], v[164:165]
	v_add_f64 v[12:13], v[12:13], v[166:167]
	v_mul_f64 v[164:165], v[0:1], s[50:51]
	v_mul_f64 v[166:167], v[0:1], s[56:57]
	s_delay_alu instid0(VALU_DEP_4) | instskip(NEXT) | instid1(VALU_DEP_4)
	v_add_f64 v[14:15], v[14:15], v[152:153]
	v_add_f64 v[12:13], v[12:13], v[154:155]
	s_delay_alu instid0(VALU_DEP_4) | instskip(NEXT) | instid1(VALU_DEP_4)
	v_fma_f64 v[176:177], v[251:252], s[22:23], -v[164:165]
	v_fma_f64 v[178:179], v[251:252], s[38:39], -v[166:167]
	v_fma_f64 v[166:167], v[251:252], s[38:39], v[166:167]
	v_fma_f64 v[164:165], v[251:252], s[22:23], v[164:165]
	v_add_f64 v[14:15], v[14:15], v[148:149]
	v_add_f64 v[12:13], v[12:13], v[150:151]
	s_delay_alu instid0(VALU_DEP_2) | instskip(NEXT) | instid1(VALU_DEP_2)
	v_add_f64 v[14:15], v[14:15], v[144:145]
	v_add_f64 v[12:13], v[12:13], v[146:147]
	s_delay_alu instid0(VALU_DEP_2) | instskip(NEXT) | instid1(VALU_DEP_2)
	v_add_f64 v[14:15], v[14:15], v[128:129]
	v_add_f64 v[12:13], v[12:13], v[130:131]
	v_mul_f64 v[128:129], v[253:254], s[50:51]
	v_mul_f64 v[130:131], v[253:254], s[56:57]
	s_delay_alu instid0(VALU_DEP_4)
	v_add_f64 v[14:15], v[14:15], v[124:125]
	v_mul_f64 v[124:125], v[253:254], s[40:41]
	v_add_f64 v[12:13], v[12:13], v[126:127]
	v_mul_f64 v[126:127], v[253:254], s[46:47]
	v_fma_f64 v[152:153], v[245:246], s[22:23], v[128:129]
	v_fma_f64 v[154:155], v[245:246], s[38:39], v[130:131]
	v_fma_f64 v[130:131], v[245:246], s[38:39], -v[130:131]
	v_fma_f64 v[128:129], v[245:246], s[22:23], -v[128:129]
	v_add_f64 v[8:9], v[14:15], v[8:9]
	v_mul_f64 v[14:15], v[253:254], s[48:49]
	v_fma_f64 v[148:149], v[245:246], s[34:35], v[124:125]
	v_fma_f64 v[150:151], v[245:246], s[26:27], v[126:127]
	v_add_f64 v[10:11], v[12:13], v[10:11]
	v_mul_f64 v[12:13], v[253:254], s[16:17]
	v_fma_f64 v[124:125], v[245:246], s[34:35], -v[124:125]
	v_fma_f64 v[126:127], v[245:246], s[26:27], -v[126:127]
	v_add_f64 v[4:5], v[8:9], v[4:5]
	v_fma_f64 v[146:147], v[245:246], s[28:29], v[14:15]
	scratch_load_b64 v[8:9], off, off offset:344 ; 8-byte Folded Reload
	v_fma_f64 v[14:15], v[245:246], s[28:29], -v[14:15]
	v_add_f64 v[6:7], v[10:11], v[6:7]
	scratch_load_b64 v[10:11], off, off offset:320 ; 8-byte Folded Reload
	v_fma_f64 v[144:145], v[245:246], s[8:9], v[12:13]
	v_fma_f64 v[12:13], v[245:246], s[8:9], -v[12:13]
	v_add_f64 v[4:5], v[4:5], v[16:17]
	v_add_f64 v[0:1], v[134:135], v[146:147]
	v_mul_f64 v[16:17], v[207:208], s[52:53]
	v_add_f64 v[6:7], v[6:7], v[18:19]
	v_add_f64 v[144:145], v[134:135], v[144:145]
	;; [unrolled: 1-line block ×3, first 2 shown]
	scratch_store_b64 off, v[0:1], off offset:568 ; 8-byte Folded Spill
	v_add_f64 v[0:1], v[132:133], v[170:171]
	v_add_f64 v[170:171], v[134:135], v[14:15]
	v_dual_mov_b32 v14, v81 :: v_dual_mov_b32 v15, v82
	v_dual_mov_b32 v82, v67 :: v_dual_mov_b32 v81, v66
	;; [unrolled: 1-line block ×3, first 2 shown]
	scratch_store_b64 off, v[0:1], off offset:560 ; 8-byte Folded Spill
	v_add_f64 v[0:1], v[134:135], v[148:149]
	v_add_f64 v[148:149], v[134:135], v[124:125]
	;; [unrolled: 1-line block ×3, first 2 shown]
	v_mul_f64 v[128:129], v[30:31], s[48:49]
	scratch_store_b64 off, v[0:1], off offset:552 ; 8-byte Folded Spill
	v_add_f64 v[0:1], v[132:133], v[172:173]
	v_dual_mov_b32 v172, v223 :: v_dual_mov_b32 v173, v224
	v_dual_mov_b32 v224, v21 :: v_dual_mov_b32 v223, v20
	scratch_store_b64 off, v[0:1], off offset:544 ; 8-byte Folded Spill
	v_add_f64 v[0:1], v[134:135], v[150:151]
	v_add_f64 v[150:151], v[134:135], v[126:127]
	;; [unrolled: 1-line block ×3, first 2 shown]
	scratch_store_b64 off, v[0:1], off offset:520 ; 8-byte Folded Spill
	v_add_f64 v[0:1], v[132:133], v[174:175]
	v_dual_mov_b32 v175, v23 :: v_dual_mov_b32 v174, v22
	scratch_store_b64 off, v[0:1], off offset:504 ; 8-byte Folded Spill
	v_add_f64 v[0:1], v[134:135], v[152:153]
	scratch_store_b64 off, v[0:1], off offset:400 ; 8-byte Folded Spill
	v_add_f64 v[0:1], v[132:133], v[176:177]
	scratch_store_b128 off, v[4:7], off offset:360 ; 16-byte Folded Spill
	v_mul_f64 v[4:5], v[253:254], s[30:31]
	v_mul_f64 v[6:7], v[251:252], s[18:19]
	v_dual_mov_b32 v176, v227 :: v_dual_mov_b32 v177, v228
	v_dual_mov_b32 v228, v33 :: v_dual_mov_b32 v227, v32
	scratch_store_b64 off, v[0:1], off offset:392 ; 8-byte Folded Spill
	v_add_f64 v[0:1], v[134:135], v[154:155]
	v_add_f64 v[4:5], v[79:80], -v[4:5]
	scratch_load_b64 v[79:80], off, off offset:336 ; 8-byte Folded Reload
	s_waitcnt vmcnt(2)
	v_add_f64 v[6:7], v[6:7], v[8:9]
	v_mul_f64 v[8:9], v[253:254], s[10:11]
	v_dual_mov_b32 v254, v238 :: v_dual_mov_b32 v253, v237
	v_dual_mov_b32 v238, v35 :: v_dual_mov_b32 v237, v34
	s_clause 0x1
	scratch_store_b32 off, v88, off offset:344
	scratch_store_b64 off, v[0:1], off offset:416
	v_add_f64 v[0:1], v[132:133], v[178:179]
	v_add_f64 v[146:147], v[134:135], v[4:5]
	;; [unrolled: 1-line block ×3, first 2 shown]
	v_dual_mov_b32 v178, v231 :: v_dual_mov_b32 v179, v232
	scratch_store_b64 off, v[0:1], off offset:408 ; 8-byte Folded Spill
	v_add_f64 v[0:1], v[134:135], v[130:131]
	v_fma_f64 v[130:131], v[28:29], s[28:29], v[128:129]
	scratch_store_b64 off, v[0:1], off offset:432 ; 8-byte Folded Spill
	v_add_f64 v[0:1], v[132:133], v[166:167]
	scratch_store_b64 off, v[0:1], off offset:424 ; 8-byte Folded Spill
	v_dual_mov_b32 v0, v215 :: v_dual_mov_b32 v1, v216
	scratch_load_b64 v[215:216], off, off offset:288 ; 8-byte Folded Reload
	s_waitcnt vmcnt(2)
	v_add_f64 v[8:9], v[10:11], -v[8:9]
	v_mul_f64 v[10:11], v[251:252], s[2:3]
	scratch_store_b128 off, v[136:139], off offset:320 ; 16-byte Folded Spill
	v_dual_mov_b32 v139, v114 :: v_dual_mov_b32 v136, v111
	v_dual_mov_b32 v137, v112 :: v_dual_mov_b32 v138, v113
	v_add_f64 v[186:187], v[134:135], v[8:9]
	v_mul_f64 v[8:9], v[24:25], s[24:25]
	v_add_f64 v[10:11], v[10:11], v[217:218]
	v_mul_f64 v[217:218], v[237:238], s[20:21]
	s_delay_alu instid0(VALU_DEP_3) | instskip(NEXT) | instid1(VALU_DEP_3)
	v_fma_f64 v[4:5], v[40:41], s[22:23], v[8:9]
	v_add_f64 v[245:246], v[132:133], v[10:11]
	v_fma_f64 v[8:9], v[40:41], s[22:23], -v[8:9]
	s_delay_alu instid0(VALU_DEP_3) | instskip(NEXT) | instid1(VALU_DEP_2)
	v_add_f64 v[4:5], v[4:5], v[144:145]
	v_add_f64 v[8:9], v[8:9], v[12:13]
	v_fma_f64 v[12:13], v[28:29], s[28:29], -v[128:129]
	s_delay_alu instid0(VALU_DEP_3) | instskip(SKIP_1) | instid1(VALU_DEP_3)
	v_add_f64 v[4:5], v[130:131], v[4:5]
	v_mul_f64 v[130:131], v[22:23], s[48:49]
	v_add_f64 v[8:9], v[12:13], v[8:9]
	s_waitcnt vmcnt(1)
	v_mul_f64 v[10:11], v[79:80], s[24:25]
	s_delay_alu instid0(VALU_DEP_3) | instskip(SKIP_1) | instid1(VALU_DEP_3)
	v_fma_f64 v[132:133], v[193:194], s[28:29], -v[130:131]
	v_fma_f64 v[12:13], v[193:194], s[28:29], v[130:131]
	v_fma_f64 v[6:7], v[84:85], s[22:23], -v[10:11]
	v_fma_f64 v[10:11], v[84:85], s[22:23], v[10:11]
	s_delay_alu instid0(VALU_DEP_2) | instskip(NEXT) | instid1(VALU_DEP_2)
	v_add_f64 v[6:7], v[6:7], v[168:169]
	v_add_f64 v[10:11], v[10:11], v[156:157]
	v_mul_f64 v[156:157], v[197:198], s[26:27]
	s_delay_alu instid0(VALU_DEP_3) | instskip(SKIP_1) | instid1(VALU_DEP_4)
	v_add_f64 v[6:7], v[132:133], v[6:7]
	v_mul_f64 v[132:133], v[34:35], s[44:45]
	v_add_f64 v[10:11], v[12:13], v[10:11]
	s_delay_alu instid0(VALU_DEP_4) | instskip(SKIP_1) | instid1(VALU_DEP_4)
	v_add_f64 v[156:157], v[156:157], v[225:226]
	v_mov_b32_e32 v226, v87
	v_fma_f64 v[134:135], v[62:63], s[38:39], v[132:133]
	v_fma_f64 v[12:13], v[62:63], s[38:39], -v[132:133]
	s_waitcnt vmcnt(0)
	v_mul_f64 v[18:19], v[215:216], s[52:53]
	s_delay_alu instid0(VALU_DEP_3) | instskip(SKIP_1) | instid1(VALU_DEP_4)
	v_add_f64 v[4:5], v[134:135], v[4:5]
	v_mul_f64 v[134:135], v[26:27], s[44:45]
	v_add_f64 v[8:9], v[12:13], v[8:9]
	s_delay_alu instid0(VALU_DEP_2) | instskip(SKIP_2) | instid1(VALU_DEP_3)
	v_fma_f64 v[144:145], v[195:196], s[38:39], -v[134:135]
	v_fma_f64 v[12:13], v[195:196], s[38:39], v[134:135]
	v_mul_f64 v[134:135], v[84:85], s[8:9]
	v_add_f64 v[6:7], v[144:145], v[6:7]
	v_mul_f64 v[144:145], v[38:39], s[40:41]
	s_delay_alu instid0(VALU_DEP_4) | instskip(NEXT) | instid1(VALU_DEP_4)
	v_add_f64 v[10:11], v[12:13], v[10:11]
	v_add_f64 v[134:135], v[134:135], v[209:210]
	s_delay_alu instid0(VALU_DEP_3) | instskip(SKIP_2) | instid1(VALU_DEP_4)
	v_fma_f64 v[152:153], v[64:65], s[34:35], v[144:145]
	v_fma_f64 v[12:13], v[64:65], s[34:35], -v[144:145]
	v_mul_f64 v[144:145], v[237:238], s[24:25]
	v_add_f64 v[134:135], v[134:135], v[245:246]
	v_mul_f64 v[245:246], v[193:194], s[38:39]
	v_add_f64 v[4:5], v[152:153], v[4:5]
	;; [unrolled: 2-line block ×3, first 2 shown]
	v_dual_mov_b32 v33, v27 :: v_dual_mov_b32 v32, v26
	v_add_f64 v[144:145], v[229:230], -v[144:145]
	v_add_f64 v[245:246], v[245:246], v[178:179]
	v_dual_mov_b32 v230, v190 :: v_dual_mov_b32 v229, v189
	s_delay_alu instid0(VALU_DEP_4) | instskip(SKIP_3) | instid1(VALU_DEP_3)
	v_mul_f64 v[231:232], v[32:33], s[20:21]
	v_fma_f64 v[154:155], v[197:198], s[34:35], -v[152:153]
	v_fma_f64 v[12:13], v[197:198], s[34:35], v[152:153]
	v_mul_f64 v[152:153], v[193:194], s[18:19]
	v_add_f64 v[6:7], v[154:155], v[6:7]
	v_mul_f64 v[154:155], v[42:43], s[54:55]
	s_delay_alu instid0(VALU_DEP_4) | instskip(NEXT) | instid1(VALU_DEP_4)
	v_add_f64 v[10:11], v[12:13], v[10:11]
	v_add_f64 v[152:153], v[152:153], v[213:214]
	v_dual_mov_b32 v214, v63 :: v_dual_mov_b32 v213, v62
	s_delay_alu instid0(VALU_DEP_4) | instskip(SKIP_1) | instid1(VALU_DEP_2)
	v_fma_f64 v[164:165], v[86:87], s[26:27], v[154:155]
	v_fma_f64 v[12:13], v[86:87], s[26:27], -v[154:155]
	v_add_f64 v[4:5], v[164:165], v[4:5]
	v_mul_f64 v[164:165], v[36:37], s[54:55]
	s_delay_alu instid0(VALU_DEP_3) | instskip(NEXT) | instid1(VALU_DEP_2)
	v_add_f64 v[8:9], v[12:13], v[8:9]
	v_fma_f64 v[166:167], v[199:200], s[26:27], -v[164:165]
	v_fma_f64 v[12:13], v[199:200], s[26:27], v[164:165]
	v_mul_f64 v[164:165], v[79:80], s[40:41]
	s_delay_alu instid0(VALU_DEP_3) | instskip(SKIP_1) | instid1(VALU_DEP_4)
	v_add_f64 v[6:7], v[166:167], v[6:7]
	v_mul_f64 v[166:167], v[205:206], s[30:31]
	v_add_f64 v[10:11], v[12:13], v[10:11]
	s_delay_alu instid0(VALU_DEP_4) | instskip(NEXT) | instid1(VALU_DEP_3)
	v_fma_f64 v[130:131], v[84:85], s[34:35], v[164:165]
	v_fma_f64 v[168:169], v[189:190], s[18:19], v[166:167]
	v_fma_f64 v[12:13], v[189:190], s[18:19], -v[166:167]
	s_delay_alu instid0(VALU_DEP_3) | instskip(NEXT) | instid1(VALU_DEP_3)
	v_add_f64 v[130:131], v[130:131], v[162:163]
	v_add_f64 v[4:5], v[168:169], v[4:5]
	v_mul_f64 v[168:169], v[20:21], s[30:31]
	s_delay_alu instid0(VALU_DEP_4) | instskip(NEXT) | instid1(VALU_DEP_2)
	v_add_f64 v[8:9], v[12:13], v[8:9]
	v_fma_f64 v[250:251], v[201:202], s[18:19], -v[168:169]
	v_fma_f64 v[12:13], v[201:202], s[18:19], v[168:169]
	v_mul_f64 v[168:169], v[174:175], s[58:59]
	s_delay_alu instid0(VALU_DEP_3) | instskip(SKIP_1) | instid1(VALU_DEP_4)
	v_add_f64 v[250:251], v[250:251], v[6:7]
	v_fma_f64 v[6:7], v[191:192], s[2:3], v[16:17]
	v_add_f64 v[12:13], v[12:13], v[10:11]
	v_fma_f64 v[10:11], v[191:192], s[2:3], -v[16:17]
	v_fma_f64 v[16:17], v[203:204], s[2:3], v[18:19]
	s_delay_alu instid0(VALU_DEP_4) | instskip(SKIP_1) | instid1(VALU_DEP_4)
	v_add_f64 v[6:7], v[6:7], v[4:5]
	v_fma_f64 v[4:5], v[203:204], s[2:3], -v[18:19]
	v_add_f64 v[182:183], v[10:11], v[8:9]
	s_delay_alu instid0(VALU_DEP_4)
	v_add_f64 v[180:181], v[16:17], v[12:13]
	v_mul_f64 v[10:11], v[34:35], s[10:11]
	v_dual_mov_b32 v8, v36 :: v_dual_mov_b32 v9, v37
	v_mul_f64 v[12:13], v[42:43], s[50:51]
	v_add_f64 v[4:5], v[4:5], v[250:251]
	v_dual_mov_b32 v250, v234 :: v_dual_mov_b32 v249, v233
	v_dual_mov_b32 v234, v31 :: v_dual_mov_b32 v233, v30
	v_fma_f64 v[26:27], v[62:63], s[2:3], -v[10:11]
	v_dual_mov_b32 v252, v236 :: v_dual_mov_b32 v251, v235
	v_mul_f64 v[235:236], v[38:39], s[44:45]
	s_delay_alu instid0(VALU_DEP_4)
	v_mul_f64 v[166:167], v[233:234], s[58:59]
	scratch_store_b128 off, v[4:7], off offset:376 ; 16-byte Folded Spill
	v_mul_f64 v[4:5], v[24:25], s[56:57]
	v_dual_mov_b32 v6, v205 :: v_dual_mov_b32 v7, v206
	v_fma_f64 v[132:133], v[28:29], s[8:9], -v[166:167]
	scratch_store_b64 off, v[4:5], off offset:440 ; 8-byte Folded Spill
	v_fma_f64 v[16:17], v[40:41], s[38:39], -v[4:5]
	v_mul_f64 v[4:5], v[79:80], s[56:57]
	s_delay_alu instid0(VALU_DEP_2) | instskip(SKIP_3) | instid1(VALU_DEP_2)
	v_add_f64 v[16:17], v[16:17], v[124:125]
	scratch_store_b64 off, v[4:5], off offset:448 ; 8-byte Folded Spill
	v_fma_f64 v[124:125], v[84:85], s[38:39], v[4:5]
	v_mul_f64 v[4:5], v[30:31], s[46:47]
	v_add_f64 v[124:125], v[124:125], v[126:127]
	scratch_store_b64 off, v[4:5], off offset:456 ; 8-byte Folded Spill
	v_fma_f64 v[126:127], v[28:29], s[26:27], -v[4:5]
	v_mul_f64 v[4:5], v[22:23], s[46:47]
	s_delay_alu instid0(VALU_DEP_2)
	v_add_f64 v[16:17], v[126:127], v[16:17]
	scratch_store_b64 off, v[4:5], off offset:464 ; 8-byte Folded Spill
	v_fma_f64 v[22:23], v[193:194], s[26:27], v[4:5]
	v_mul_f64 v[4:5], v[32:33], s[10:11]
	v_add_f64 v[16:17], v[26:27], v[16:17]
	v_mul_f64 v[26:27], v[227:228], s[44:45]
	s_delay_alu instid0(VALU_DEP_4) | instskip(SKIP_3) | instid1(VALU_DEP_2)
	v_add_f64 v[22:23], v[22:23], v[124:125]
	scratch_store_b64 off, v[4:5], off offset:472 ; 8-byte Folded Spill
	v_fma_f64 v[124:125], v[195:196], s[2:3], v[4:5]
	v_mul_f64 v[4:5], v[38:39], s[30:31]
	v_add_f64 v[22:23], v[124:125], v[22:23]
	scratch_store_b64 off, v[4:5], off offset:480 ; 8-byte Folded Spill
	v_fma_f64 v[30:31], v[64:65], s[18:19], -v[4:5]
	v_mul_f64 v[4:5], v[227:228], s[30:31]
	s_delay_alu instid0(VALU_DEP_2) | instskip(SKIP_4) | instid1(VALU_DEP_3)
	v_add_f64 v[16:17], v[30:31], v[16:17]
	scratch_store_b64 off, v[4:5], off offset:488 ; 8-byte Folded Spill
	v_fma_f64 v[124:125], v[197:198], s[18:19], v[4:5]
	v_mul_f64 v[4:5], v[42:43], s[40:41]
	v_mul_f64 v[30:31], v[215:216], s[16:17]
	v_add_f64 v[22:23], v[124:125], v[22:23]
	scratch_store_b64 off, v[4:5], off offset:496 ; 8-byte Folded Spill
	v_fma_f64 v[34:35], v[86:87], s[34:35], -v[4:5]
	v_mul_f64 v[4:5], v[36:37], s[40:41]
	v_mul_f64 v[36:37], v[8:9], s[50:51]
	s_delay_alu instid0(VALU_DEP_3) | instskip(SKIP_4) | instid1(VALU_DEP_3)
	v_add_f64 v[16:17], v[34:35], v[16:17]
	scratch_store_b64 off, v[4:5], off offset:512 ; 8-byte Folded Spill
	v_fma_f64 v[124:125], v[199:200], s[34:35], v[4:5]
	v_mul_f64 v[4:5], v[205:206], s[48:49]
	v_mul_f64 v[34:35], v[207:208], s[16:17]
	v_add_f64 v[22:23], v[124:125], v[22:23]
	scratch_store_b64 off, v[4:5], off offset:528 ; 8-byte Folded Spill
	v_fma_f64 v[124:125], v[189:190], s[28:29], -v[4:5]
	v_mul_f64 v[4:5], v[20:21], s[48:49]
	v_dual_mov_b32 v20, v38 :: v_dual_mov_b32 v21, v39
	v_fma_f64 v[38:39], v[199:200], s[22:23], v[36:37]
	s_delay_alu instid0(VALU_DEP_2)
	v_mul_f64 v[154:155], v[20:21], s[46:47]
	v_add_f64 v[16:17], v[124:125], v[16:17]
	v_fma_f64 v[124:125], v[201:202], s[28:29], v[4:5]
	scratch_store_b64 off, v[4:5], off offset:536 ; 8-byte Folded Spill
	v_dual_mov_b32 v4, v207 :: v_dual_mov_b32 v5, v208
	v_dual_mov_b32 v208, v29 :: v_dual_mov_b32 v207, v28
	;; [unrolled: 1-line block ×3, first 2 shown]
	v_add_f64 v[154:155], v[241:242], -v[154:155]
	v_add_f64 v[22:23], v[124:125], v[22:23]
	v_fma_f64 v[124:125], v[191:192], s[8:9], -v[34:35]
	s_delay_alu instid0(VALU_DEP_1)
	v_add_f64 v[126:127], v[124:125], v[16:17]
	v_fma_f64 v[124:125], v[203:204], s[8:9], v[30:31]
	v_dual_mov_b32 v16, v107 :: v_dual_mov_b32 v17, v108
	v_dual_mov_b32 v18, v109 :: v_dual_mov_b32 v19, v110
	v_mov_b32_e32 v107, v90
	v_dual_mov_b32 v111, v94 :: v_dual_mov_b32 v108, v91
	v_dual_mov_b32 v110, v93 :: v_dual_mov_b32 v109, v92
	v_dual_mov_b32 v91, v47 :: v_dual_mov_b32 v88, v44
	v_dual_mov_b32 v90, v46 :: v_dual_mov_b32 v89, v45
	v_mul_f64 v[44:45], v[223:224], s[10:11]
	v_add_f64 v[124:125], v[124:125], v[22:23]
	v_mul_f64 v[22:23], v[24:25], s[40:41]
	s_delay_alu instid0(VALU_DEP_3) | instskip(NEXT) | instid1(VALU_DEP_2)
	v_fma_f64 v[46:47], v[201:202], s[2:3], v[44:45]
	v_fma_f64 v[128:129], v[40:41], s[34:35], -v[22:23]
	v_mul_f64 v[40:41], v[205:206], s[10:11]
	v_dual_mov_b32 v206, v43 :: v_dual_mov_b32 v205, v42
	s_delay_alu instid0(VALU_DEP_1) | instskip(NEXT) | instid1(VALU_DEP_4)
	v_mul_f64 v[162:163], v[205:206], s[48:49]
	v_add_f64 v[128:129], v[128:129], v[150:151]
	v_mul_f64 v[150:151], v[195:196], s[22:23]
	v_fma_f64 v[42:43], v[189:190], s[2:3], -v[40:41]
	s_delay_alu instid0(VALU_DEP_4)
	v_add_f64 v[162:163], v[176:177], -v[162:163]
	v_dual_mov_b32 v179, v102 :: v_dual_mov_b32 v178, v101
	v_dual_mov_b32 v177, v100 :: v_dual_mov_b32 v176, v99
	v_add_f64 v[128:129], v[132:133], v[128:129]
	v_fma_f64 v[132:133], v[193:194], s[8:9], v[168:169]
	v_add_f64 v[150:151], v[150:151], v[0:1]
	scratch_load_b64 v[0:1], off, off offset:16 ; 8-byte Folded Reload
	v_add_f64 v[130:131], v[132:133], v[130:131]
	v_fma_f64 v[132:133], v[62:63], s[18:19], -v[217:218]
	s_delay_alu instid0(VALU_DEP_1) | instskip(SKIP_1) | instid1(VALU_DEP_1)
	v_add_f64 v[128:129], v[132:133], v[128:129]
	v_fma_f64 v[132:133], v[195:196], s[18:19], v[231:232]
	v_add_f64 v[130:131], v[132:133], v[130:131]
	v_fma_f64 v[132:133], v[64:65], s[38:39], -v[235:236]
	s_delay_alu instid0(VALU_DEP_1) | instskip(SKIP_1) | instid1(VALU_DEP_1)
	v_add_f64 v[128:129], v[132:133], v[128:129]
	v_fma_f64 v[132:133], v[197:198], s[38:39], v[26:27]
	v_add_f64 v[130:131], v[132:133], v[130:131]
	v_fma_f64 v[132:133], v[86:87], s[22:23], -v[12:13]
	s_delay_alu instid0(VALU_DEP_2) | instskip(NEXT) | instid1(VALU_DEP_2)
	v_add_f64 v[38:39], v[38:39], v[130:131]
	v_add_f64 v[128:129], v[132:133], v[128:129]
	v_mul_f64 v[132:133], v[24:25], s[16:17]
	s_delay_alu instid0(VALU_DEP_3) | instskip(SKIP_1) | instid1(VALU_DEP_4)
	v_add_f64 v[38:39], v[46:47], v[38:39]
	v_mul_f64 v[46:47], v[4:5], s[48:49]
	v_add_f64 v[42:43], v[42:43], v[128:129]
	s_delay_alu instid0(VALU_DEP_4)
	v_add_f64 v[132:133], v[211:212], -v[132:133]
	v_dual_mov_b32 v212, v118 :: v_dual_mov_b32 v211, v117
	v_dual_mov_b32 v210, v116 :: v_dual_mov_b32 v209, v115
	;; [unrolled: 1-line block ×4, first 2 shown]
	v_mul_f64 v[68:69], v[20:21], s[50:51]
	v_mov_b32_e32 v225, v86
	v_fma_f64 v[128:129], v[191:192], s[28:29], -v[46:47]
	v_add_f64 v[132:133], v[132:133], v[186:187]
	v_mul_f64 v[186:187], v[199:200], s[28:29]
	s_delay_alu instid0(VALU_DEP_3) | instskip(SKIP_1) | instid1(VALU_DEP_3)
	v_add_f64 v[130:131], v[128:129], v[42:43]
	v_mul_f64 v[42:43], v[215:216], s[48:49]
	v_add_f64 v[186:187], v[186:187], v[243:244]
	v_dual_mov_b32 v244, v106 :: v_dual_mov_b32 v243, v105
	v_dual_mov_b32 v242, v104 :: v_dual_mov_b32 v241, v103
	;; [unrolled: 1-line block ×4, first 2 shown]
	v_mul_f64 v[56:57], v[205:206], s[56:57]
	v_mov_b32_e32 v104, v83
	v_fma_f64 v[128:129], v[203:204], s[28:29], v[42:43]
	s_delay_alu instid0(VALU_DEP_3) | instskip(NEXT) | instid1(VALU_DEP_2)
	v_fma_f64 v[58:59], v[86:87], s[38:39], -v[56:57]
	v_add_f64 v[128:129], v[128:129], v[38:39]
	v_mul_f64 v[38:39], v[233:234], s[20:21]
	s_delay_alu instid0(VALU_DEP_1) | instskip(SKIP_1) | instid1(VALU_DEP_2)
	v_add_f64 v[38:39], v[221:222], -v[38:39]
	v_dual_mov_b32 v222, v85 :: v_dual_mov_b32 v221, v84
	v_add_f64 v[38:39], v[38:39], v[132:133]
	v_add_f64 v[132:133], v[152:153], v[134:135]
	v_mul_f64 v[134:135], v[6:7], s[42:43]
	v_mul_f64 v[152:153], v[203:204], s[38:39]
	s_delay_alu instid0(VALU_DEP_4) | instskip(SKIP_1) | instid1(VALU_DEP_4)
	v_add_f64 v[38:39], v[144:145], v[38:39]
	v_mul_f64 v[144:145], v[201:202], s[34:35]
	v_add_f64 v[134:135], v[251:252], -v[134:135]
	v_add_f64 v[132:133], v[150:151], v[132:133]
	v_mul_f64 v[150:151], v[4:5], s[44:45]
	v_add_f64 v[152:153], v[152:153], v[249:250]
	v_add_f64 v[38:39], v[154:155], v[38:39]
	s_waitcnt vmcnt(0)
	v_add_f64 v[144:145], v[144:145], v[0:1]
	scratch_load_b64 v[0:1], off, off offset:312 ; 8-byte Folded Reload
	v_mul_f64 v[154:155], v[205:206], s[52:53]
	v_add_f64 v[150:151], v[247:248], -v[150:151]
	v_add_f64 v[132:133], v[156:157], v[132:133]
	v_mul_f64 v[156:157], v[20:21], s[16:17]
	v_add_f64 v[38:39], v[162:163], v[38:39]
	v_mul_f64 v[162:163], v[195:196], s[26:27]
	s_delay_alu instid0(VALU_DEP_4)
	v_add_f64 v[132:133], v[186:187], v[132:133]
	v_mul_f64 v[186:187], v[84:85], s[28:29]
	v_add_f64 v[156:157], v[219:220], -v[156:157]
	v_mov_b32_e32 v219, v76
	v_add_f64 v[38:39], v[134:135], v[38:39]
	v_add_f64 v[162:163], v[162:163], v[239:240]
	;; [unrolled: 1-line block ×3, first 2 shown]
	v_mul_f64 v[144:145], v[233:234], s[44:45]
	v_add_f64 v[186:187], v[186:187], v[172:173]
	v_dual_mov_b32 v173, v80 :: v_dual_mov_b32 v172, v79
	v_add_f64 v[134:135], v[150:151], v[38:39]
	v_mul_f64 v[150:151], v[6:7], s[50:51]
	v_mul_f64 v[38:39], v[24:25], s[36:37]
	v_add_f64 v[132:133], v[152:153], v[132:133]
	v_add_f64 v[144:145], v[2:3], -v[144:145]
	v_mul_f64 v[152:153], v[237:238], s[46:47]
	v_mul_f64 v[2:3], v[223:224], s[16:17]
	v_add_f64 v[38:39], v[77:78], -v[38:39]
	v_mul_f64 v[76:77], v[6:7], s[44:45]
	s_delay_alu instid0(VALU_DEP_4) | instskip(SKIP_1) | instid1(VALU_DEP_4)
	v_add_f64 v[152:153], v[60:61], -v[152:153]
	v_mul_f64 v[60:61], v[4:5], s[54:55]
	v_add_f64 v[38:39], v[38:39], v[146:147]
	v_add_f64 v[146:147], v[186:187], v[184:185]
	v_mul_f64 v[184:185], v[197:198], s[8:9]
	v_mul_f64 v[186:187], v[237:238], s[48:49]
	s_delay_alu instid0(VALU_DEP_4) | instskip(NEXT) | instid1(VALU_DEP_4)
	v_add_f64 v[38:39], v[144:145], v[38:39]
	v_add_f64 v[144:145], v[245:246], v[146:147]
	s_delay_alu instid0(VALU_DEP_4)
	v_add_f64 v[184:185], v[184:185], v[253:254]
	v_mul_f64 v[146:147], v[199:200], s[2:3]
	v_dual_mov_b32 v253, v143 :: v_dual_mov_b32 v250, v140
	v_dual_mov_b32 v252, v142 :: v_dual_mov_b32 v251, v141
	;; [unrolled: 1-line block ×8, first 2 shown]
	v_mul_f64 v[48:49], v[20:21], s[52:53]
	v_dual_mov_b32 v99, v55 :: v_dual_mov_b32 v96, v52
	v_mov_b32_e32 v97, v53
	v_mul_f64 v[245:246], v[32:33], s[48:49]
	v_mov_b32_e32 v98, v54
	v_mul_f64 v[52:53], v[227:228], s[52:53]
	v_dual_mov_b32 v119, v75 :: v_dual_mov_b32 v118, v74
	v_dual_mov_b32 v117, v73 :: v_dual_mov_b32 v116, v72
	v_mul_f64 v[72:73], v[205:206], s[16:17]
	v_add_f64 v[38:39], v[152:153], v[38:39]
	v_add_f64 v[144:145], v[162:163], v[144:145]
	v_mul_f64 v[162:163], v[79:80], s[20:21]
	v_add_f64 v[146:147], v[146:147], v[66:67]
	v_mul_f64 v[152:153], v[201:202], s[22:23]
	v_fma_f64 v[78:79], v[229:230], s[38:39], -v[76:77]
	v_fma_f64 v[50:51], v[64:65], s[2:3], -v[48:49]
	v_fma_f64 v[54:55], v[197:198], s[2:3], v[52:53]
	v_fma_f64 v[74:75], v[86:87], s[8:9], -v[72:73]
	v_add_f64 v[38:39], v[156:157], v[38:39]
	v_add_f64 v[144:145], v[184:185], v[144:145]
	v_mul_f64 v[156:157], v[4:5], s[40:41]
	v_mul_f64 v[184:185], v[174:175], s[50:51]
	v_add_f64 v[152:153], v[152:153], v[81:82]
	v_mul_f64 v[80:81], v[4:5], s[30:31]
	s_waitcnt vmcnt(0)
	v_add_f64 v[150:151], v[0:1], -v[150:151]
	scratch_load_b64 v[0:1], off, off offset:304 ; 8-byte Folded Reload
	v_add_f64 v[144:145], v[146:147], v[144:145]
	v_mul_f64 v[146:147], v[203:204], s[34:35]
	v_fma_f64 v[82:83], v[191:192], s[18:19], -v[80:81]
	s_delay_alu instid0(VALU_DEP_3)
	v_add_f64 v[144:145], v[152:153], v[144:145]
	s_waitcnt vmcnt(0)
	v_add_f64 v[154:155], v[0:1], -v[154:155]
	scratch_load_b64 v[0:1], off, off offset:296 ; 8-byte Folded Reload
	v_add_f64 v[38:39], v[154:155], v[38:39]
	v_add_f64 v[154:155], v[146:147], v[14:15]
	s_delay_alu instid0(VALU_DEP_2) | instskip(NEXT) | instid1(VALU_DEP_2)
	v_add_f64 v[38:39], v[150:151], v[38:39]
	v_add_f64 v[144:145], v[154:155], v[144:145]
	s_waitcnt vmcnt(0)
	v_add_f64 v[156:157], v[0:1], -v[156:157]
	v_mul_f64 v[0:1], v[6:7], s[16:17]
	s_delay_alu instid0(VALU_DEP_2) | instskip(SKIP_2) | instid1(VALU_DEP_2)
	v_add_f64 v[146:147], v[156:157], v[38:39]
	v_mul_f64 v[38:39], v[24:25], s[20:21]
	v_mul_f64 v[156:157], v[233:234], s[10:11]
	v_fma_f64 v[150:151], v[28:29], s[18:19], -v[38:39]
	s_delay_alu instid0(VALU_DEP_2) | instskip(NEXT) | instid1(VALU_DEP_2)
	v_fma_f64 v[154:155], v[207:208], s[2:3], -v[156:157]
	v_add_f64 v[148:149], v[150:151], v[148:149]
	v_fma_f64 v[150:151], v[84:85], s[18:19], v[162:163]
	s_delay_alu instid0(VALU_DEP_1) | instskip(SKIP_1) | instid1(VALU_DEP_1)
	v_add_f64 v[150:151], v[150:151], v[160:161]
	v_mul_f64 v[160:161], v[233:234], s[50:51]
	v_fma_f64 v[152:153], v[207:208], s[22:23], -v[160:161]
	s_delay_alu instid0(VALU_DEP_1) | instskip(SKIP_1) | instid1(VALU_DEP_1)
	v_add_f64 v[148:149], v[152:153], v[148:149]
	v_fma_f64 v[152:153], v[193:194], s[22:23], v[184:185]
	v_add_f64 v[150:151], v[152:153], v[150:151]
	v_fma_f64 v[152:153], v[62:63], s[28:29], -v[186:187]
	v_fma_f64 v[62:63], v[191:192], s[26:27], -v[60:61]
	s_delay_alu instid0(VALU_DEP_2) | instskip(SKIP_1) | instid1(VALU_DEP_2)
	v_add_f64 v[148:149], v[152:153], v[148:149]
	v_fma_f64 v[152:153], v[195:196], s[28:29], v[245:246]
	v_add_f64 v[50:51], v[50:51], v[148:149]
	s_delay_alu instid0(VALU_DEP_2) | instskip(NEXT) | instid1(VALU_DEP_2)
	v_add_f64 v[150:151], v[152:153], v[150:151]
	v_add_f64 v[50:51], v[58:59], v[50:51]
	v_mul_f64 v[58:59], v[8:9], s[56:57]
	s_delay_alu instid0(VALU_DEP_3) | instskip(NEXT) | instid1(VALU_DEP_2)
	v_add_f64 v[54:55], v[54:55], v[150:151]
	v_fma_f64 v[148:149], v[199:200], s[38:39], v[58:59]
	s_delay_alu instid0(VALU_DEP_1) | instskip(SKIP_3) | instid1(VALU_DEP_2)
	v_add_f64 v[54:55], v[148:149], v[54:55]
	v_fma_f64 v[148:149], v[189:190], s[8:9], -v[0:1]
	v_dual_mov_b32 v190, v65 :: v_dual_mov_b32 v189, v64
	v_mul_f64 v[64:65], v[237:238], s[42:43]
	v_fma_f64 v[70:71], v[189:190], s[22:23], -v[68:69]
	v_fma_f64 v[48:49], v[189:190], s[2:3], v[48:49]
	v_add_f64 v[50:51], v[148:149], v[50:51]
	v_fma_f64 v[148:149], v[201:202], s[8:9], v[2:3]
	v_fma_f64 v[2:3], v[201:202], s[8:9], -v[2:3]
	v_fma_f64 v[66:67], v[213:214], s[34:35], -v[64:65]
	v_fma_f64 v[64:65], v[213:214], s[34:35], v[64:65]
	v_add_f64 v[150:151], v[62:63], v[50:51]
	v_mul_f64 v[50:51], v[215:216], s[54:55]
	v_add_f64 v[54:55], v[148:149], v[54:55]
	s_delay_alu instid0(VALU_DEP_2) | instskip(NEXT) | instid1(VALU_DEP_1)
	v_fma_f64 v[62:63], v[203:204], s[26:27], v[50:51]
	v_add_f64 v[148:149], v[62:63], v[54:55]
	v_mul_f64 v[54:55], v[24:25], s[54:55]
	s_delay_alu instid0(VALU_DEP_1) | instskip(SKIP_1) | instid1(VALU_DEP_2)
	v_fma_f64 v[62:63], v[28:29], s[26:27], -v[54:55]
	v_fma_f64 v[54:55], v[28:29], s[26:27], v[54:55]
	v_add_f64 v[14:15], v[62:63], v[170:171]
	v_mul_f64 v[62:63], v[172:173], s[54:55]
	s_delay_alu instid0(VALU_DEP_2) | instskip(NEXT) | instid1(VALU_DEP_2)
	v_add_f64 v[14:15], v[154:155], v[14:15]
	v_fma_f64 v[152:153], v[84:85], s[26:27], v[62:63]
	v_fma_f64 v[62:63], v[221:222], s[26:27], -v[62:63]
	s_delay_alu instid0(VALU_DEP_3) | instskip(NEXT) | instid1(VALU_DEP_3)
	v_add_f64 v[14:15], v[66:67], v[14:15]
	v_add_f64 v[152:153], v[152:153], v[158:159]
	v_mul_f64 v[158:159], v[174:175], s[10:11]
	v_mul_f64 v[66:67], v[32:33], s[42:43]
	s_delay_alu instid0(VALU_DEP_4) | instskip(SKIP_1) | instid1(VALU_DEP_4)
	v_add_f64 v[14:15], v[70:71], v[14:15]
	v_mul_f64 v[70:71], v[227:228], s[50:51]
	v_fma_f64 v[154:155], v[193:194], s[2:3], v[158:159]
	s_delay_alu instid0(VALU_DEP_3) | instskip(SKIP_1) | instid1(VALU_DEP_3)
	v_add_f64 v[14:15], v[74:75], v[14:15]
	v_mul_f64 v[74:75], v[8:9], s[16:17]
	v_add_f64 v[152:153], v[154:155], v[152:153]
	v_fma_f64 v[154:155], v[195:196], s[34:35], v[66:67]
	s_delay_alu instid0(VALU_DEP_4) | instskip(SKIP_1) | instid1(VALU_DEP_3)
	v_add_f64 v[14:15], v[78:79], v[14:15]
	v_mul_f64 v[78:79], v[223:224], s[44:45]
	v_add_f64 v[152:153], v[154:155], v[152:153]
	v_fma_f64 v[154:155], v[197:198], s[22:23], v[70:71]
	s_delay_alu instid0(VALU_DEP_1) | instskip(SKIP_1) | instid1(VALU_DEP_1)
	v_add_f64 v[152:153], v[154:155], v[152:153]
	v_fma_f64 v[154:155], v[199:200], s[8:9], v[74:75]
	v_add_f64 v[152:153], v[154:155], v[152:153]
	v_fma_f64 v[154:155], v[201:202], s[38:39], v[78:79]
	s_delay_alu instid0(VALU_DEP_1) | instskip(SKIP_2) | instid1(VALU_DEP_1)
	v_add_f64 v[152:153], v[154:155], v[152:153]
	v_add_f64 v[154:155], v[82:83], v[14:15]
	v_mul_f64 v[14:15], v[215:216], s[30:31]
	v_fma_f64 v[82:83], v[203:204], s[18:19], v[14:15]
	v_fma_f64 v[14:15], v[203:204], s[18:19], -v[14:15]
	s_delay_alu instid0(VALU_DEP_2)
	v_add_f64 v[152:153], v[82:83], v[152:153]
	scratch_load_b64 v[82:83], off, off offset:568 ; 8-byte Folded Reload
	s_waitcnt vmcnt(0)
	v_add_f64 v[54:55], v[54:55], v[82:83]
	scratch_load_b64 v[82:83], off, off offset:560 ; 8-byte Folded Reload
	s_waitcnt vmcnt(0)
	v_add_f64 v[62:63], v[62:63], v[82:83]
	v_fma_f64 v[82:83], v[207:208], s[2:3], v[156:157]
	s_delay_alu instid0(VALU_DEP_1) | instskip(SKIP_1) | instid1(VALU_DEP_2)
	v_add_f64 v[54:55], v[82:83], v[54:55]
	v_fma_f64 v[82:83], v[193:194], s[2:3], -v[158:159]
	v_add_f64 v[54:55], v[64:65], v[54:55]
	s_delay_alu instid0(VALU_DEP_2) | instskip(SKIP_2) | instid1(VALU_DEP_2)
	v_add_f64 v[62:63], v[82:83], v[62:63]
	v_fma_f64 v[64:65], v[195:196], s[34:35], -v[66:67]
	v_mov_b32_e32 v83, v104
	v_add_f64 v[62:63], v[64:65], v[62:63]
	v_fma_f64 v[64:65], v[189:190], s[22:23], v[68:69]
	s_delay_alu instid0(VALU_DEP_1) | instskip(SKIP_4) | instid1(VALU_DEP_4)
	v_add_f64 v[54:55], v[64:65], v[54:55]
	v_fma_f64 v[64:65], v[197:198], s[22:23], -v[70:71]
	v_mov_b32_e32 v68, v112
	v_dual_mov_b32 v70, v114 :: v_dual_mov_b32 v69, v113
	v_mov_b32_e32 v71, v115
	v_add_f64 v[62:63], v[64:65], v[62:63]
	v_fma_f64 v[64:65], v[225:226], s[8:9], v[72:73]
	s_delay_alu instid0(VALU_DEP_1)
	v_add_f64 v[54:55], v[64:65], v[54:55]
	v_fma_f64 v[64:65], v[199:200], s[8:9], -v[74:75]
	v_mov_b32_e32 v72, v116
	v_dual_mov_b32 v74, v118 :: v_dual_mov_b32 v73, v117
	v_mov_b32_e32 v75, v119
	v_mov_b32_e32 v115, v209
	v_dual_mov_b32 v117, v211 :: v_dual_mov_b32 v116, v210
	v_mov_b32_e32 v118, v212
	v_add_f64 v[62:63], v[64:65], v[62:63]
	v_fma_f64 v[64:65], v[229:230], s[38:39], v[76:77]
	v_mov_b32_e32 v76, v219
	s_delay_alu instid0(VALU_DEP_2) | instskip(SKIP_1) | instid1(VALU_DEP_1)
	v_add_f64 v[54:55], v[64:65], v[54:55]
	v_fma_f64 v[64:65], v[201:202], s[38:39], -v[78:79]
	v_add_f64 v[62:63], v[64:65], v[62:63]
	v_fma_f64 v[64:65], v[191:192], s[18:19], v[80:81]
	s_delay_alu instid0(VALU_DEP_2)
	v_add_f64 v[156:157], v[14:15], v[62:63]
	v_fma_f64 v[14:15], v[28:29], s[18:19], v[38:39]
	scratch_load_b64 v[38:39], off, off offset:552 ; 8-byte Folded Reload
	v_add_f64 v[158:159], v[64:65], v[54:55]
	scratch_load_b64 v[54:55], off, off offset:544 ; 8-byte Folded Reload
	s_waitcnt vmcnt(1)
	v_add_f64 v[14:15], v[14:15], v[38:39]
	v_fma_f64 v[38:39], v[221:222], s[18:19], -v[162:163]
	s_waitcnt vmcnt(0)
	s_delay_alu instid0(VALU_DEP_1) | instskip(SKIP_1) | instid1(VALU_DEP_1)
	v_add_f64 v[38:39], v[38:39], v[54:55]
	v_fma_f64 v[54:55], v[207:208], s[22:23], v[160:161]
	v_add_f64 v[14:15], v[54:55], v[14:15]
	v_fma_f64 v[54:55], v[193:194], s[22:23], -v[184:185]
	s_delay_alu instid0(VALU_DEP_1) | instskip(SKIP_1) | instid1(VALU_DEP_1)
	v_add_f64 v[38:39], v[54:55], v[38:39]
	v_fma_f64 v[54:55], v[213:214], s[28:29], v[186:187]
	v_add_f64 v[14:15], v[54:55], v[14:15]
	v_fma_f64 v[54:55], v[195:196], s[28:29], -v[245:246]
	s_delay_alu instid0(VALU_DEP_2) | instskip(NEXT) | instid1(VALU_DEP_2)
	v_add_f64 v[14:15], v[48:49], v[14:15]
	v_add_f64 v[38:39], v[54:55], v[38:39]
	v_fma_f64 v[48:49], v[197:198], s[2:3], -v[52:53]
	s_delay_alu instid0(VALU_DEP_1) | instskip(SKIP_1) | instid1(VALU_DEP_1)
	v_add_f64 v[38:39], v[48:49], v[38:39]
	v_fma_f64 v[48:49], v[225:226], s[38:39], v[56:57]
	v_add_f64 v[14:15], v[48:49], v[14:15]
	v_fma_f64 v[48:49], v[199:200], s[38:39], -v[58:59]
	v_mul_f64 v[58:59], v[215:216], s[24:25]
	s_delay_alu instid0(VALU_DEP_2)
	v_add_f64 v[38:39], v[48:49], v[38:39]
	v_fma_f64 v[48:49], v[229:230], s[8:9], v[0:1]
	scratch_load_b64 v[0:1], off, off offset:520 ; 8-byte Folded Reload
	v_add_f64 v[2:3], v[2:3], v[38:39]
	v_add_f64 v[14:15], v[48:49], v[14:15]
	v_fma_f64 v[48:49], v[203:204], s[26:27], -v[50:51]
	v_fma_f64 v[38:39], v[191:192], s[26:27], v[60:61]
	s_delay_alu instid0(VALU_DEP_2) | instskip(SKIP_1) | instid1(VALU_DEP_3)
	v_add_f64 v[160:161], v[48:49], v[2:3]
	v_fma_f64 v[2:3], v[28:29], s[34:35], v[22:23]
	v_add_f64 v[162:163], v[38:39], v[14:15]
	v_fma_f64 v[14:15], v[221:222], s[34:35], -v[164:165]
	v_fma_f64 v[22:23], v[207:208], s[8:9], v[166:167]
	s_waitcnt vmcnt(0)
	s_delay_alu instid0(VALU_DEP_4)
	v_add_f64 v[2:3], v[2:3], v[0:1]
	scratch_load_b64 v[0:1], off, off offset:504 ; 8-byte Folded Reload
	v_add_f64 v[2:3], v[22:23], v[2:3]
	v_fma_f64 v[22:23], v[193:194], s[8:9], -v[168:169]
	s_waitcnt vmcnt(0)
	v_add_f64 v[14:15], v[14:15], v[0:1]
	v_fma_f64 v[0:1], v[225:226], s[22:23], v[12:13]
	scratch_load_b64 v[12:13], off, off offset:432 ; 8-byte Folded Reload
	v_add_f64 v[14:15], v[22:23], v[14:15]
	v_fma_f64 v[22:23], v[213:214], s[18:19], v[217:218]
	s_delay_alu instid0(VALU_DEP_1) | instskip(SKIP_1) | instid1(VALU_DEP_1)
	v_add_f64 v[2:3], v[22:23], v[2:3]
	v_fma_f64 v[22:23], v[195:196], s[18:19], -v[231:232]
	v_add_f64 v[14:15], v[22:23], v[14:15]
	v_fma_f64 v[22:23], v[189:190], s[38:39], v[235:236]
	s_delay_alu instid0(VALU_DEP_1) | instskip(SKIP_1) | instid1(VALU_DEP_2)
	v_add_f64 v[2:3], v[22:23], v[2:3]
	v_fma_f64 v[22:23], v[197:198], s[38:39], -v[26:27]
	v_add_f64 v[0:1], v[0:1], v[2:3]
	s_delay_alu instid0(VALU_DEP_2) | instskip(SKIP_3) | instid1(VALU_DEP_3)
	v_add_f64 v[14:15], v[22:23], v[14:15]
	v_fma_f64 v[2:3], v[199:200], s[22:23], -v[36:37]
	v_fma_f64 v[22:23], v[203:204], s[28:29], -v[42:43]
	v_mul_f64 v[36:37], v[233:234], s[40:41]
	v_add_f64 v[2:3], v[2:3], v[14:15]
	v_fma_f64 v[14:15], v[229:230], s[2:3], v[40:41]
	s_delay_alu instid0(VALU_DEP_3) | instskip(NEXT) | instid1(VALU_DEP_2)
	v_fma_f64 v[38:39], v[207:208], s[34:35], -v[36:37]
	v_add_f64 v[0:1], v[14:15], v[0:1]
	v_fma_f64 v[14:15], v[201:202], s[2:3], -v[44:45]
	s_delay_alu instid0(VALU_DEP_1) | instskip(SKIP_1) | instid1(VALU_DEP_2)
	v_add_f64 v[2:3], v[14:15], v[2:3]
	v_fma_f64 v[14:15], v[191:192], s[28:29], v[46:47]
	v_add_f64 v[164:165], v[22:23], v[2:3]
	s_delay_alu instid0(VALU_DEP_2) | instskip(SKIP_2) | instid1(VALU_DEP_2)
	v_add_f64 v[166:167], v[14:15], v[0:1]
	v_mul_f64 v[0:1], v[24:25], s[10:11]
	v_mul_f64 v[14:15], v[172:173], s[10:11]
	v_fma_f64 v[2:3], v[28:29], s[2:3], -v[0:1]
	s_delay_alu instid0(VALU_DEP_2) | instskip(SKIP_2) | instid1(VALU_DEP_3)
	v_fma_f64 v[22:23], v[221:222], s[2:3], v[14:15]
	v_fma_f64 v[0:1], v[28:29], s[2:3], v[0:1]
	s_waitcnt vmcnt(0)
	v_add_f64 v[2:3], v[2:3], v[12:13]
	scratch_load_b64 v[12:13], off, off offset:424 ; 8-byte Folded Reload
	v_add_f64 v[2:3], v[38:39], v[2:3]
	v_mul_f64 v[38:39], v[174:175], s[40:41]
	s_delay_alu instid0(VALU_DEP_1) | instskip(SKIP_2) | instid1(VALU_DEP_1)
	v_fma_f64 v[40:41], v[193:194], s[34:35], v[38:39]
	s_waitcnt vmcnt(0)
	v_add_f64 v[22:23], v[22:23], v[12:13]
	v_add_f64 v[22:23], v[40:41], v[22:23]
	v_mul_f64 v[40:41], v[237:238], s[16:17]
	s_delay_alu instid0(VALU_DEP_1) | instskip(NEXT) | instid1(VALU_DEP_1)
	v_fma_f64 v[42:43], v[213:214], s[8:9], -v[40:41]
	v_add_f64 v[2:3], v[42:43], v[2:3]
	v_mul_f64 v[42:43], v[32:33], s[16:17]
	s_delay_alu instid0(VALU_DEP_1) | instskip(NEXT) | instid1(VALU_DEP_1)
	v_fma_f64 v[44:45], v[195:196], s[8:9], v[42:43]
	v_add_f64 v[22:23], v[44:45], v[22:23]
	v_mul_f64 v[44:45], v[20:21], s[36:37]
	s_delay_alu instid0(VALU_DEP_1) | instskip(NEXT) | instid1(VALU_DEP_1)
	v_fma_f64 v[46:47], v[189:190], s[28:29], -v[44:45]
	v_add_f64 v[2:3], v[46:47], v[2:3]
	v_mul_f64 v[46:47], v[227:228], s[36:37]
	s_delay_alu instid0(VALU_DEP_1) | instskip(NEXT) | instid1(VALU_DEP_1)
	v_fma_f64 v[48:49], v[197:198], s[28:29], v[46:47]
	;; [unrolled: 8-line block ×4, first 2 shown]
	v_add_f64 v[22:23], v[56:57], v[22:23]
	v_mul_f64 v[56:57], v[4:5], s[24:25]
	scratch_load_b64 v[4:5], off, off offset:408 ; 8-byte Folded Reload
	v_fma_f64 v[60:61], v[191:192], s[22:23], -v[56:57]
	s_delay_alu instid0(VALU_DEP_1) | instskip(SKIP_1) | instid1(VALU_DEP_1)
	v_add_f64 v[170:171], v[60:61], v[2:3]
	v_fma_f64 v[2:3], v[203:204], s[22:23], v[58:59]
	v_add_f64 v[168:169], v[2:3], v[22:23]
	scratch_load_b64 v[2:3], off, off offset:416 ; 8-byte Folded Reload
	v_fma_f64 v[22:23], v[203:204], s[22:23], -v[58:59]
	s_waitcnt vmcnt(0)
	v_add_f64 v[0:1], v[0:1], v[2:3]
	v_fma_f64 v[2:3], v[221:222], s[2:3], -v[14:15]
	v_fma_f64 v[14:15], v[207:208], s[34:35], v[36:37]
	s_delay_alu instid0(VALU_DEP_2) | instskip(NEXT) | instid1(VALU_DEP_2)
	v_add_f64 v[2:3], v[2:3], v[4:5]
	v_add_f64 v[0:1], v[14:15], v[0:1]
	v_fma_f64 v[14:15], v[193:194], s[34:35], -v[38:39]
	s_delay_alu instid0(VALU_DEP_1) | instskip(SKIP_1) | instid1(VALU_DEP_1)
	v_add_f64 v[2:3], v[14:15], v[2:3]
	v_fma_f64 v[14:15], v[213:214], s[8:9], v[40:41]
	v_add_f64 v[0:1], v[14:15], v[0:1]
	v_fma_f64 v[14:15], v[195:196], s[8:9], -v[42:43]
	s_delay_alu instid0(VALU_DEP_1) | instskip(SKIP_1) | instid1(VALU_DEP_1)
	v_add_f64 v[2:3], v[14:15], v[2:3]
	v_fma_f64 v[14:15], v[189:190], s[28:29], v[44:45]
	v_add_f64 v[0:1], v[14:15], v[0:1]
	v_fma_f64 v[14:15], v[197:198], s[28:29], -v[46:47]
	v_dual_mov_b32 v44, v88 :: v_dual_mov_b32 v45, v89
	v_dual_mov_b32 v46, v90 :: v_dual_mov_b32 v47, v91
	s_clause 0x1
	scratch_load_b32 v89, off, off offset:352
	scratch_load_b32 v88, off, off offset:344
	v_mov_b32_e32 v90, v107
	scratch_load_b64 v[4:5], off, off offset:456 ; 8-byte Folded Reload
	v_add_f64 v[2:3], v[14:15], v[2:3]
	v_fma_f64 v[14:15], v[225:226], s[18:19], v[48:49]
	s_delay_alu instid0(VALU_DEP_1)
	v_add_f64 v[0:1], v[14:15], v[0:1]
	v_fma_f64 v[14:15], v[199:200], s[18:19], -v[50:51]
	v_dual_mov_b32 v48, v92 :: v_dual_mov_b32 v49, v93
	v_dual_mov_b32 v50, v94 :: v_dual_mov_b32 v51, v95
	;; [unrolled: 1-line block ×6, first 2 shown]
	v_fma_f64 v[18:19], v[213:214], s[2:3], v[10:11]
	v_fma_f64 v[16:17], v[203:204], s[8:9], -v[30:31]
	v_dual_mov_b32 v111, v136 :: v_dual_mov_b32 v112, v137
	v_dual_mov_b32 v113, v138 :: v_dual_mov_b32 v114, v139
	scratch_load_b128 v[136:139], off, off offset:320 ; 16-byte Folded Reload
	v_add_f64 v[2:3], v[14:15], v[2:3]
	v_fma_f64 v[14:15], v[229:230], s[26:27], v[52:53]
	s_delay_alu instid0(VALU_DEP_1)
	v_add_f64 v[0:1], v[14:15], v[0:1]
	v_fma_f64 v[14:15], v[201:202], s[26:27], -v[54:55]
	v_dual_mov_b32 v52, v96 :: v_dual_mov_b32 v53, v97
	v_dual_mov_b32 v54, v98 :: v_dual_mov_b32 v55, v99
	;; [unrolled: 1-line block ×8, first 2 shown]
	v_add_f64 v[2:3], v[14:15], v[2:3]
	v_fma_f64 v[14:15], v[191:192], s[22:23], v[56:57]
	v_dual_mov_b32 v56, v100 :: v_dual_mov_b32 v57, v101
	v_dual_mov_b32 v58, v102 :: v_dual_mov_b32 v59, v103
	;; [unrolled: 1-line block ×6, first 2 shown]
	v_add_f64 v[172:173], v[22:23], v[2:3]
	v_add_f64 v[174:175], v[14:15], v[0:1]
	s_clause 0x1
	scratch_load_b64 v[0:1], off, off offset:440
	scratch_load_b64 v[2:3], off, off offset:448
	s_waitcnt vmcnt(3)
	v_fma_f64 v[12:13], v[207:208], s[26:27], v[4:5]
	scratch_load_b64 v[4:5], off, off offset:400 ; 8-byte Folded Reload
	s_waitcnt vmcnt(2)
	v_fma_f64 v[0:1], v[28:29], s[38:39], v[0:1]
	s_waitcnt vmcnt(0)
	s_delay_alu instid0(VALU_DEP_1) | instskip(SKIP_2) | instid1(VALU_DEP_1)
	v_add_f64 v[0:1], v[0:1], v[4:5]
	scratch_load_b64 v[4:5], off, off offset:464 ; 8-byte Folded Reload
	v_add_f64 v[0:1], v[12:13], v[0:1]
	v_add_f64 v[0:1], v[18:19], v[0:1]
	s_waitcnt vmcnt(0)
	v_fma_f64 v[14:15], v[193:194], s[26:27], -v[4:5]
	scratch_load_b64 v[4:5], off, off offset:392 ; 8-byte Folded Reload
	v_fma_f64 v[2:3], v[221:222], s[38:39], -v[2:3]
	s_waitcnt vmcnt(0)
	s_delay_alu instid0(VALU_DEP_1)
	v_add_f64 v[2:3], v[2:3], v[4:5]
	scratch_load_b64 v[4:5], off, off offset:472 ; 8-byte Folded Reload
	v_add_f64 v[2:3], v[14:15], v[2:3]
	s_waitcnt vmcnt(0)
	v_fma_f64 v[12:13], v[195:196], s[2:3], -v[4:5]
	scratch_load_b64 v[4:5], off, off offset:480 ; 8-byte Folded Reload
	v_add_f64 v[2:3], v[12:13], v[2:3]
	s_waitcnt vmcnt(0)
	v_fma_f64 v[14:15], v[189:190], s[18:19], v[4:5]
	scratch_load_b64 v[4:5], off, off offset:488 ; 8-byte Folded Reload
	v_add_f64 v[0:1], v[14:15], v[0:1]
	s_waitcnt vmcnt(0)
	v_fma_f64 v[18:19], v[197:198], s[18:19], -v[4:5]
	scratch_load_b64 v[4:5], off, off offset:496 ; 8-byte Folded Reload
	v_add_f64 v[2:3], v[18:19], v[2:3]
	s_waitcnt vmcnt(0)
	v_fma_f64 v[12:13], v[225:226], s[34:35], v[4:5]
	scratch_load_b64 v[4:5], off, off offset:512 ; 8-byte Folded Reload
	v_add_f64 v[0:1], v[12:13], v[0:1]
	s_waitcnt vmcnt(0)
	v_fma_f64 v[14:15], v[199:200], s[34:35], -v[4:5]
	scratch_load_b64 v[4:5], off, off offset:528 ; 8-byte Folded Reload
	v_add_f64 v[2:3], v[14:15], v[2:3]
	v_fma_f64 v[14:15], v[191:192], s[8:9], v[34:35]
	s_waitcnt vmcnt(0)
	v_fma_f64 v[18:19], v[229:230], s[28:29], v[4:5]
	scratch_load_b64 v[4:5], off, off offset:536 ; 8-byte Folded Reload
	v_add_f64 v[0:1], v[18:19], v[0:1]
	s_delay_alu instid0(VALU_DEP_1) | instskip(SKIP_3) | instid1(VALU_DEP_1)
	v_add_f64 v[178:179], v[14:15], v[0:1]
	scratch_load_b32 v0, off, off offset:8  ; 4-byte Folded Reload
	s_waitcnt vmcnt(1)
	v_fma_f64 v[12:13], v[201:202], s[28:29], -v[4:5]
	v_add_f64 v[2:3], v[12:13], v[2:3]
	s_delay_alu instid0(VALU_DEP_1) | instskip(SKIP_3) | instid1(VALU_DEP_1)
	v_add_f64 v[176:177], v[16:17], v[2:3]
	scratch_load_b128 v[1:4], off, off offset:360 ; 16-byte Folded Reload
	s_waitcnt vmcnt(1)
	v_mul_lo_u16 v0, v0, 17
	v_and_b32_e32 v0, 0xffff, v0
	s_delay_alu instid0(VALU_DEP_1)
	v_lshlrev_b32_e32 v0, 4, v0
	s_waitcnt vmcnt(0)
	ds_store_b128 v0, v[1:4]
	ds_store_b128 v0, v[124:127] offset:16
	ds_store_b128 v0, v[168:171] offset:32
	;; [unrolled: 1-line block ×8, first 2 shown]
	scratch_load_b128 v[1:4], off, off offset:376 ; 16-byte Folded Reload
	s_waitcnt vmcnt(0)
	ds_store_b128 v0, v[1:4] offset:144
	ds_store_b128 v0, v[156:159] offset:160
	;; [unrolled: 1-line block ×8, first 2 shown]
.LBB0_17:
	s_or_b32 exec_lo, exec_lo, s1
	s_waitcnt lgkmcnt(0)
	s_waitcnt_vscnt null, 0x0
	s_barrier
	buffer_gl0_inv
	ds_load_b128 v[0:3], v188 offset:11424
	ds_load_b128 v[4:7], v188 offset:13328
	;; [unrolled: 1-line block ×6, first 2 shown]
	scratch_load_b128 v[36:39], off, off offset:32 ; 16-byte Folded Reload
	s_waitcnt lgkmcnt(5)
	v_mul_f64 v[12:13], v[54:55], v[2:3]
	v_mul_f64 v[14:15], v[54:55], v[0:1]
	s_waitcnt lgkmcnt(4)
	v_mul_f64 v[16:17], v[58:59], v[6:7]
	v_mul_f64 v[18:19], v[58:59], v[4:5]
	;; [unrolled: 3-line block ×4, first 2 shown]
	v_fma_f64 v[0:1], v[52:53], v[0:1], v[12:13]
	v_fma_f64 v[2:3], v[52:53], v[2:3], -v[14:15]
	v_fma_f64 v[4:5], v[56:57], v[4:5], v[16:17]
	v_fma_f64 v[6:7], v[56:57], v[6:7], -v[18:19]
	s_waitcnt vmcnt(0)
	v_mul_f64 v[20:21], v[38:39], v[10:11]
	v_mul_f64 v[22:23], v[38:39], v[8:9]
	scratch_load_b128 v[38:41], off, off offset:48 ; 16-byte Folded Reload
	v_fma_f64 v[12:13], v[36:37], v[8:9], v[20:21]
	v_fma_f64 v[14:15], v[36:37], v[10:11], -v[22:23]
	v_fma_f64 v[20:21], v[48:49], v[128:129], v[28:29]
	v_fma_f64 v[22:23], v[48:49], v[130:131], -v[30:31]
	s_waitcnt vmcnt(0)
	v_mul_f64 v[24:25], v[40:41], v[126:127]
	v_mul_f64 v[26:27], v[40:41], v[124:125]
	s_delay_alu instid0(VALU_DEP_2) | instskip(NEXT) | instid1(VALU_DEP_2)
	v_fma_f64 v[16:17], v[38:39], v[124:125], v[24:25]
	v_fma_f64 v[18:19], v[38:39], v[126:127], -v[26:27]
	v_fma_f64 v[24:25], v[44:45], v[132:133], v[32:33]
	v_fma_f64 v[26:27], v[44:45], v[134:135], -v[34:35]
	ds_load_b128 v[8:11], v188
	ds_load_b128 v[40:43], v188 offset:1904
	ds_load_b128 v[44:47], v188 offset:3808
	;; [unrolled: 1-line block ×5, first 2 shown]
	s_waitcnt lgkmcnt(0)
	s_barrier
	buffer_gl0_inv
	v_add_f64 v[124:125], v[8:9], -v[0:1]
	v_add_f64 v[126:127], v[10:11], -v[2:3]
	;; [unrolled: 1-line block ×12, first 2 shown]
	v_fma_f64 v[144:145], v[8:9], 2.0, -v[124:125]
	v_fma_f64 v[146:147], v[10:11], 2.0, -v[126:127]
	;; [unrolled: 1-line block ×12, first 2 shown]
	ds_store_b128 v83, v[144:147]
	ds_store_b128 v83, v[124:127] offset:272
	ds_store_b128 v90, v[148:151]
	ds_store_b128 v90, v[128:131] offset:272
	;; [unrolled: 2-line block ×4, first 2 shown]
	scratch_load_b32 v12, off, off offset:176 ; 4-byte Folded Reload
	s_waitcnt vmcnt(0)
	ds_store_b128 v12, v[8:11]
	ds_store_b128 v12, v[4:7] offset:272
	scratch_load_b32 v12, off, off offset:184 ; 4-byte Folded Reload
	s_waitcnt vmcnt(0)
	ds_store_b128 v12, v[40:43]
	ds_store_b128 v12, v[36:39] offset:272
	s_waitcnt lgkmcnt(0)
	s_barrier
	buffer_gl0_inv
	ds_load_b128 v[44:47], v188
	ds_load_b128 v[128:131], v188 offset:3264
	ds_load_b128 v[124:127], v188 offset:6528
	;; [unrolled: 1-line block ×6, first 2 shown]
	s_and_saveexec_b32 s1, s0
	s_cbranch_execz .LBB0_19
; %bb.18:
	ds_load_b128 v[0:3], v188 offset:1904
	ds_load_b128 v[8:11], v188 offset:5168
	ds_load_b128 v[4:7], v188 offset:8432
	ds_load_b128 v[40:43], v188 offset:11696
	ds_load_b128 v[36:39], v188 offset:14960
	ds_load_b128 v[140:143], v188 offset:18224
	ds_load_b128 v[136:139], v188 offset:21488
.LBB0_19:
	s_or_b32 exec_lo, exec_lo, s1
	s_clause 0x3
	scratch_load_b128 v[87:90], off, off offset:112
	scratch_load_b128 v[83:86], off, off offset:96
	;; [unrolled: 1-line block ×4, first 2 shown]
	s_waitcnt lgkmcnt(1)
	v_mul_f64 v[24:25], v[74:75], v[58:59]
	v_mul_f64 v[26:27], v[74:75], v[56:57]
	;; [unrolled: 1-line block ×4, first 2 shown]
	s_mov_b32 s8, 0x37e14327
	s_mov_b32 s16, 0xe976ee23
	;; [unrolled: 1-line block ×20, first 2 shown]
	s_waitcnt vmcnt(0) lgkmcnt(0)
	s_barrier
	buffer_gl0_inv
	v_fma_f64 v[24:25], v[72:73], v[56:57], v[24:25]
	v_fma_f64 v[26:27], v[72:73], v[58:59], -v[26:27]
	v_fma_f64 v[32:33], v[68:69], v[48:49], v[32:33]
	v_fma_f64 v[34:35], v[68:69], v[50:51], -v[34:35]
	v_mul_f64 v[12:13], v[89:90], v[130:131]
	v_mul_f64 v[14:15], v[89:90], v[128:129]
	;; [unrolled: 1-line block ×8, first 2 shown]
	v_fma_f64 v[12:13], v[87:88], v[128:129], v[12:13]
	v_fma_f64 v[14:15], v[87:88], v[130:131], -v[14:15]
	v_fma_f64 v[16:17], v[83:84], v[124:125], v[16:17]
	v_fma_f64 v[18:19], v[83:84], v[126:127], -v[18:19]
	;; [unrolled: 2-line block ×4, first 2 shown]
	v_add_f64 v[52:53], v[16:17], v[24:25]
	v_add_f64 v[54:55], v[18:19], v[26:27]
	;; [unrolled: 1-line block ×4, first 2 shown]
	v_add_f64 v[16:17], v[16:17], -v[24:25]
	v_add_f64 v[18:19], v[18:19], -v[26:27]
	v_add_f64 v[24:25], v[28:29], v[32:33]
	v_add_f64 v[26:27], v[30:31], v[34:35]
	v_add_f64 v[28:29], v[32:33], -v[28:29]
	v_add_f64 v[30:31], v[34:35], -v[30:31]
	v_add_f64 v[12:13], v[12:13], -v[20:21]
	v_add_f64 v[14:15], v[14:15], -v[22:23]
	v_add_f64 v[20:21], v[52:53], v[48:49]
	v_add_f64 v[22:23], v[54:55], v[50:51]
	v_add_f64 v[32:33], v[48:49], -v[24:25]
	v_add_f64 v[34:35], v[50:51], -v[26:27]
	;; [unrolled: 1-line block ×6, first 2 shown]
	v_add_f64 v[16:17], v[28:29], v[16:17]
	v_add_f64 v[18:19], v[30:31], v[18:19]
	v_add_f64 v[28:29], v[12:13], -v[28:29]
	v_add_f64 v[30:31], v[14:15], -v[30:31]
	;; [unrolled: 1-line block ×4, first 2 shown]
	v_add_f64 v[20:21], v[24:25], v[20:21]
	v_add_f64 v[22:23], v[26:27], v[22:23]
	v_add_f64 v[24:25], v[24:25], -v[52:53]
	v_add_f64 v[26:27], v[26:27], -v[54:55]
	v_mul_f64 v[32:33], v[32:33], s[8:9]
	v_mul_f64 v[34:35], v[34:35], s[8:9]
	;; [unrolled: 1-line block ×6, first 2 shown]
	v_add_f64 v[12:13], v[16:17], v[12:13]
	v_add_f64 v[14:15], v[18:19], v[14:15]
	;; [unrolled: 1-line block ×4, first 2 shown]
	v_mul_f64 v[52:53], v[24:25], s[20:21]
	v_mul_f64 v[54:55], v[26:27], s[20:21]
	v_fma_f64 v[16:17], v[24:25], s[20:21], v[32:33]
	v_fma_f64 v[18:19], v[26:27], s[20:21], v[34:35]
	;; [unrolled: 1-line block ×4, first 2 shown]
	v_fma_f64 v[56:57], v[60:61], s[2:3], -v[56:57]
	v_fma_f64 v[58:59], v[62:63], s[2:3], -v[58:59]
	;; [unrolled: 1-line block ×6, first 2 shown]
	v_fma_f64 v[20:21], v[20:21], s[10:11], v[44:45]
	v_fma_f64 v[22:23], v[22:23], s[10:11], v[46:47]
	v_fma_f64 v[48:49], v[48:49], s[18:19], -v[52:53]
	v_fma_f64 v[50:51], v[50:51], s[18:19], -v[54:55]
	v_fma_f64 v[24:25], v[12:13], s[28:29], v[24:25]
	v_fma_f64 v[26:27], v[14:15], s[28:29], v[26:27]
	;; [unrolled: 1-line block ×6, first 2 shown]
	v_add_f64 v[16:17], v[16:17], v[20:21]
	v_add_f64 v[18:19], v[18:19], v[22:23]
	;; [unrolled: 1-line block ×7, first 2 shown]
	v_add_f64 v[50:51], v[18:19], -v[24:25]
	v_add_f64 v[52:53], v[14:15], v[28:29]
	v_add_f64 v[54:55], v[30:31], -v[12:13]
	v_add_f64 v[56:57], v[20:21], -v[62:63]
	v_add_f64 v[58:59], v[60:61], v[22:23]
	v_add_f64 v[64:65], v[62:63], v[20:21]
	v_add_f64 v[66:67], v[22:23], -v[60:61]
	v_add_f64 v[68:69], v[28:29], -v[14:15]
	v_add_f64 v[70:71], v[12:13], v[30:31]
	v_add_f64 v[72:73], v[16:17], -v[26:27]
	v_add_f64 v[74:75], v[24:25], v[18:19]
	ds_store_b128 v76, v[44:47]
	ds_store_b128 v76, v[48:51] offset:544
	ds_store_b128 v76, v[52:55] offset:1088
	ds_store_b128 v76, v[56:59] offset:1632
	ds_store_b128 v76, v[64:67] offset:2176
	ds_store_b128 v76, v[68:71] offset:2720
	ds_store_b128 v76, v[72:75] offset:3264
	s_mov_b32 s1, exec_lo
	scratch_load_b32 v76, off, off offset:8 ; 4-byte Folded Reload
	s_and_b32 s0, s1, s0
	s_delay_alu instid0(SALU_CYCLE_1)
	s_mov_b32 exec_lo, s0
	s_cbranch_execz .LBB0_21
; %bb.20:
	s_clause 0x4
	scratch_load_b128 v[44:47], off, off offset:192
	scratch_load_b128 v[48:51], off, off offset:208
	;; [unrolled: 1-line block ×5, first 2 shown]
	s_waitcnt vmcnt(4)
	v_mul_f64 v[14:15], v[46:47], v[8:9]
	s_waitcnt vmcnt(3)
	v_mul_f64 v[16:17], v[50:51], v[140:141]
	v_mul_f64 v[26:27], v[50:51], v[142:143]
	scratch_load_b128 v[50:53], off, off offset:224 ; 16-byte Folded Reload
	s_waitcnt vmcnt(3)
	v_mul_f64 v[12:13], v[60:61], v[136:137]
	s_waitcnt vmcnt(2)
	v_mul_f64 v[18:19], v[64:65], v[4:5]
	v_mul_f64 v[20:21], v[46:47], v[10:11]
	;; [unrolled: 1-line block ×4, first 2 shown]
	s_waitcnt vmcnt(1)
	v_mul_f64 v[30:31], v[56:57], v[42:43]
	v_mul_f64 v[32:33], v[56:57], v[40:41]
	v_fma_f64 v[10:11], v[44:45], v[10:11], -v[14:15]
	v_fma_f64 v[14:15], v[48:49], v[142:143], -v[16:17]
	;; [unrolled: 1-line block ×4, first 2 shown]
	v_fma_f64 v[8:9], v[44:45], v[8:9], v[20:21]
	v_fma_f64 v[16:17], v[58:59], v[136:137], v[22:23]
	;; [unrolled: 1-line block ×5, first 2 shown]
	v_fma_f64 v[24:25], v[54:55], v[42:43], -v[32:33]
	v_add_f64 v[30:31], v[6:7], v[14:15]
	v_add_f64 v[6:7], v[6:7], -v[14:15]
	v_add_f64 v[32:33], v[8:9], v[16:17]
	v_add_f64 v[8:9], v[8:9], -v[16:17]
	s_waitcnt vmcnt(0)
	v_mul_f64 v[28:29], v[52:53], v[38:39]
	v_mul_f64 v[34:35], v[52:53], v[36:37]
	s_delay_alu instid0(VALU_DEP_2) | instskip(NEXT) | instid1(VALU_DEP_2)
	v_fma_f64 v[20:21], v[50:51], v[36:37], v[28:29]
	v_fma_f64 v[26:27], v[50:51], v[38:39], -v[34:35]
	v_add_f64 v[28:29], v[10:11], v[12:13]
	v_add_f64 v[34:35], v[4:5], v[18:19]
	v_add_f64 v[4:5], v[4:5], -v[18:19]
	v_add_f64 v[10:11], v[10:11], -v[12:13]
	;; [unrolled: 1-line block ×3, first 2 shown]
	v_add_f64 v[18:19], v[24:25], v[26:27]
	v_add_f64 v[20:21], v[22:23], v[20:21]
	;; [unrolled: 1-line block ×3, first 2 shown]
	v_add_f64 v[22:23], v[26:27], -v[24:25]
	v_add_f64 v[12:13], v[34:35], v[32:33]
	v_add_f64 v[38:39], v[4:5], -v[8:9]
	v_add_f64 v[42:43], v[6:7], -v[10:11]
	;; [unrolled: 1-line block ×5, first 2 shown]
	v_add_f64 v[16:17], v[18:19], v[16:17]
	v_add_f64 v[18:19], v[18:19], -v[30:31]
	v_add_f64 v[40:41], v[22:23], -v[6:7]
	v_add_f64 v[12:13], v[20:21], v[12:13]
	v_add_f64 v[20:21], v[20:21], -v[34:35]
	v_add_f64 v[44:45], v[8:9], -v[36:37]
	v_add_f64 v[4:5], v[36:37], v[4:5]
	v_add_f64 v[6:7], v[22:23], v[6:7]
	v_mul_f64 v[36:37], v[38:39], s[2:3]
	v_add_f64 v[22:23], v[10:11], -v[22:23]
	v_add_f64 v[28:29], v[30:31], -v[28:29]
	v_mul_f64 v[46:47], v[42:43], s[2:3]
	v_add_f64 v[32:33], v[34:35], -v[32:33]
	v_mul_f64 v[14:15], v[14:15], s[16:17]
	v_mul_f64 v[24:25], v[24:25], s[8:9]
	v_mul_f64 v[26:27], v[26:27], s[8:9]
	v_add_f64 v[2:3], v[2:3], v[16:17]
	v_mul_f64 v[30:31], v[18:19], s[20:21]
	v_mul_f64 v[40:41], v[40:41], s[16:17]
	v_add_f64 v[0:1], v[0:1], v[12:13]
	v_mul_f64 v[34:35], v[20:21], s[20:21]
	v_add_f64 v[4:5], v[4:5], v[8:9]
	v_add_f64 v[6:7], v[6:7], v[10:11]
	v_fma_f64 v[8:9], v[44:45], s[24:25], v[14:15]
	v_fma_f64 v[10:11], v[18:19], s[20:21], v[24:25]
	;; [unrolled: 1-line block ×3, first 2 shown]
	v_fma_f64 v[20:21], v[44:45], s[26:27], -v[36:37]
	v_fma_f64 v[14:15], v[38:39], s[2:3], -v[14:15]
	v_fma_f64 v[16:17], v[16:17], s[10:11], v[2:3]
	v_fma_f64 v[24:25], v[28:29], s[22:23], -v[24:25]
	v_fma_f64 v[28:29], v[28:29], s[18:19], -v[30:31]
	v_fma_f64 v[30:31], v[22:23], s[24:25], v[40:41]
	v_fma_f64 v[12:13], v[12:13], s[10:11], v[0:1]
	v_fma_f64 v[22:23], v[22:23], s[26:27], -v[46:47]
	v_fma_f64 v[26:27], v[32:33], s[22:23], -v[26:27]
	;; [unrolled: 1-line block ×4, first 2 shown]
	v_fma_f64 v[8:9], v[4:5], s[28:29], v[8:9]
	v_fma_f64 v[20:21], v[4:5], s[28:29], v[20:21]
	;; [unrolled: 1-line block ×3, first 2 shown]
	v_add_f64 v[34:35], v[10:11], v[16:17]
	v_add_f64 v[24:25], v[24:25], v[16:17]
	;; [unrolled: 1-line block ×3, first 2 shown]
	v_fma_f64 v[28:29], v[6:7], s[28:29], v[30:31]
	v_add_f64 v[38:39], v[18:19], v[12:13]
	v_fma_f64 v[30:31], v[6:7], s[28:29], v[22:23]
	v_add_f64 v[40:41], v[26:27], v[12:13]
	v_add_f64 v[12:13], v[32:33], v[12:13]
	v_fma_f64 v[36:37], v[6:7], s[28:29], v[36:37]
	v_add_f64 v[26:27], v[34:35], -v[8:9]
	v_add_f64 v[10:11], v[20:21], v[24:25]
	v_add_f64 v[14:15], v[16:17], -v[4:5]
	v_add_f64 v[18:19], v[4:5], v[16:17]
	v_add_f64 v[22:23], v[24:25], -v[20:21]
	v_add_f64 v[24:25], v[28:29], v[38:39]
	v_add_f64 v[4:5], v[38:39], -v[28:29]
	s_clause 0x1
	scratch_load_b32 v28, off, off offset:160
	scratch_load_b32 v29, off, off offset:168
	v_add_f64 v[20:21], v[30:31], v[40:41]
	v_add_f64 v[16:17], v[12:13], -v[36:37]
	v_add_f64 v[12:13], v[36:37], v[12:13]
	v_add_f64 v[6:7], v[8:9], v[34:35]
	v_add_f64 v[8:9], v[40:41], -v[30:31]
	s_waitcnt vmcnt(1)
	v_and_b32_e32 v28, 0xffff, v28
	s_delay_alu instid0(VALU_DEP_1) | instskip(SKIP_1) | instid1(VALU_DEP_1)
	v_mul_u32_u24_e32 v28, 0xee, v28
	s_waitcnt vmcnt(0)
	v_add_lshl_u32 v28, v28, v29, 4
	ds_store_b128 v28, v[0:3]
	ds_store_b128 v28, v[24:27] offset:544
	ds_store_b128 v28, v[20:23] offset:1088
	;; [unrolled: 1-line block ×6, first 2 shown]
.LBB0_21:
	s_or_b32 exec_lo, exec_lo, s1
	s_waitcnt vmcnt(0) lgkmcnt(0)
	s_barrier
	buffer_gl0_inv
	ds_load_b128 v[0:3], v188 offset:11424
	ds_load_b128 v[4:7], v188 offset:19040
	;; [unrolled: 1-line block ×4, first 2 shown]
	s_clause 0x1
	scratch_load_b128 v[64:67], off, off offset:128
	scratch_load_b128 v[68:71], off, off offset:144
	ds_load_b128 v[16:19], v188 offset:3808
	ds_load_b128 v[20:23], v188 offset:5712
	s_mov_b32 s0, 0xe8584caa
	s_mov_b32 s1, 0xbfebb67a
	;; [unrolled: 1-line block ×4, first 2 shown]
	s_waitcnt lgkmcnt(5)
	v_mul_f64 v[24:25], v[109:110], v[0:1]
	v_mul_f64 v[42:43], v[109:110], v[2:3]
	s_waitcnt lgkmcnt(3)
	v_mul_f64 v[28:29], v[121:122], v[8:9]
	s_waitcnt lgkmcnt(1)
	v_mul_f64 v[40:41], v[105:106], v[16:17]
	v_mul_f64 v[52:53], v[105:106], v[18:19]
	s_waitcnt lgkmcnt(0)
	v_mul_f64 v[62:63], v[93:94], v[22:23]
	v_fma_f64 v[46:47], v[107:108], v[2:3], -v[24:25]
	v_mul_f64 v[2:3], v[93:94], v[20:21]
	v_fma_f64 v[42:43], v[107:108], v[0:1], v[42:43]
	v_fma_f64 v[18:19], v[103:104], v[18:19], -v[40:41]
	v_fma_f64 v[16:17], v[103:104], v[16:17], v[52:53]
	v_fma_f64 v[20:21], v[91:92], v[20:21], v[62:63]
	v_fma_f64 v[22:23], v[91:92], v[22:23], -v[2:3]
	s_waitcnt vmcnt(1)
	v_mul_f64 v[26:27], v[66:67], v[4:5]
	s_waitcnt vmcnt(0)
	v_mul_f64 v[30:31], v[70:71], v[12:13]
	v_mul_f64 v[44:45], v[66:67], v[6:7]
	;; [unrolled: 1-line block ×3, first 2 shown]
	s_delay_alu instid0(VALU_DEP_4)
	v_fma_f64 v[48:49], v[64:65], v[6:7], -v[26:27]
	v_mul_f64 v[6:7], v[121:122], v[10:11]
	v_fma_f64 v[10:11], v[119:120], v[10:11], -v[28:29]
	v_fma_f64 v[14:15], v[68:69], v[14:15], -v[30:31]
	ds_load_b128 v[24:27], v188 offset:7616
	ds_load_b128 v[28:31], v188 offset:15232
	;; [unrolled: 1-line block ×4, first 2 shown]
	v_fma_f64 v[44:45], v[64:65], v[4:5], v[44:45]
	v_fma_f64 v[12:13], v[68:69], v[12:13], v[50:51]
	s_waitcnt lgkmcnt(3)
	v_mul_f64 v[54:55], v[117:118], v[26:27]
	v_mul_f64 v[56:57], v[117:118], v[24:25]
	s_waitcnt lgkmcnt(2)
	v_mul_f64 v[58:59], v[113:114], v[30:31]
	v_mul_f64 v[60:61], v[113:114], v[28:29]
	;; [unrolled: 3-line block ×4, first 2 shown]
	v_add_f64 v[0:1], v[46:47], v[48:49]
	v_fma_f64 v[8:9], v[119:120], v[8:9], v[6:7]
	v_add_f64 v[2:3], v[10:11], v[14:15]
	v_add_f64 v[68:69], v[10:11], -v[14:15]
	v_add_f64 v[6:7], v[42:43], v[44:45]
	v_add_f64 v[50:51], v[42:43], -v[44:45]
	v_add_f64 v[10:11], v[22:23], v[10:11]
	v_fma_f64 v[24:25], v[115:116], v[24:25], v[54:55]
	v_fma_f64 v[26:27], v[115:116], v[26:27], -v[56:57]
	v_fma_f64 v[28:29], v[111:112], v[28:29], v[58:59]
	v_fma_f64 v[30:31], v[111:112], v[30:31], -v[60:61]
	;; [unrolled: 2-line block ×4, first 2 shown]
	v_add_f64 v[58:59], v[46:47], -v[48:49]
	v_fma_f64 v[0:1], v[0:1], -0.5, v[18:19]
	v_add_f64 v[4:5], v[8:9], v[12:13]
	v_add_f64 v[40:41], v[8:9], -v[12:13]
	v_fma_f64 v[52:53], v[2:3], -0.5, v[22:23]
	v_add_f64 v[18:19], v[18:19], v[46:47]
	v_fma_f64 v[60:61], v[6:7], -0.5, v[16:17]
	v_add_f64 v[16:17], v[16:17], v[42:43]
	v_add_f64 v[8:9], v[20:21], v[8:9]
	;; [unrolled: 1-line block ×5, first 2 shown]
	v_add_f64 v[74:75], v[26:27], -v[30:31]
	v_add_f64 v[64:65], v[32:33], v[36:37]
	v_add_f64 v[66:67], v[34:35], v[38:39]
	v_add_f64 v[46:47], v[34:35], -v[38:39]
	v_fma_f64 v[62:63], v[50:51], s[2:3], v[0:1]
	v_fma_f64 v[50:51], v[50:51], s[0:1], v[0:1]
	v_fma_f64 v[70:71], v[4:5], -0.5, v[20:21]
	v_fma_f64 v[72:73], v[40:41], s[2:3], v[52:53]
	v_fma_f64 v[40:41], v[40:41], s[0:1], v[52:53]
	ds_load_b128 v[0:3], v188
	ds_load_b128 v[4:7], v188 offset:1904
	v_fma_f64 v[20:21], v[58:59], s[0:1], v[60:61]
	v_fma_f64 v[22:23], v[58:59], s[2:3], v[60:61]
	v_add_f64 v[16:17], v[16:17], v[44:45]
	v_add_f64 v[18:19], v[18:19], v[48:49]
	;; [unrolled: 1-line block ×3, first 2 shown]
	s_waitcnt lgkmcnt(1)
	v_add_f64 v[52:53], v[0:1], v[24:25]
	v_add_f64 v[26:27], v[2:3], v[26:27]
	s_waitcnt lgkmcnt(0)
	v_add_f64 v[42:43], v[4:5], v[32:33]
	v_add_f64 v[34:35], v[6:7], v[34:35]
	v_add_f64 v[24:25], v[24:25], -v[28:29]
	v_fma_f64 v[0:1], v[54:55], -0.5, v[0:1]
	v_fma_f64 v[2:3], v[56:57], -0.5, v[2:3]
	v_add_f64 v[32:33], v[32:33], -v[36:37]
	v_fma_f64 v[4:5], v[64:65], -0.5, v[4:5]
	v_fma_f64 v[6:7], v[66:67], -0.5, v[6:7]
	v_mul_f64 v[54:55], v[62:63], s[0:1]
	v_mul_f64 v[58:59], v[62:63], 0.5
	v_mul_f64 v[56:57], v[50:51], s[0:1]
	v_fma_f64 v[60:61], v[68:69], s[0:1], v[70:71]
	v_mul_f64 v[64:65], v[72:73], s[0:1]
	v_mul_f64 v[66:67], v[72:73], 0.5
	v_mul_f64 v[50:51], v[50:51], -0.5
	v_fma_f64 v[62:63], v[68:69], s[2:3], v[70:71]
	v_mul_f64 v[68:69], v[40:41], s[0:1]
	v_mul_f64 v[40:41], v[40:41], -0.5
	v_add_f64 v[28:29], v[52:53], v[28:29]
	v_add_f64 v[26:27], v[26:27], v[30:31]
	;; [unrolled: 1-line block ×4, first 2 shown]
	v_fma_f64 v[36:37], v[74:75], s[0:1], v[0:1]
	v_fma_f64 v[42:43], v[24:25], s[2:3], v[2:3]
	v_fma_f64 v[44:45], v[24:25], s[0:1], v[2:3]
	v_fma_f64 v[38:39], v[74:75], s[2:3], v[0:1]
	v_fma_f64 v[24:25], v[20:21], 0.5, v[54:55]
	v_fma_f64 v[52:53], v[20:21], s[2:3], v[58:59]
	v_fma_f64 v[48:49], v[22:23], -0.5, v[56:57]
	v_fma_f64 v[54:55], v[46:47], s[0:1], v[4:5]
	v_fma_f64 v[56:57], v[32:33], s[2:3], v[6:7]
	v_fma_f64 v[64:65], v[60:61], 0.5, v[64:65]
	v_fma_f64 v[60:61], v[60:61], s[2:3], v[66:67]
	v_fma_f64 v[50:51], v[22:23], s[2:3], v[50:51]
	;; [unrolled: 1-line block ×4, first 2 shown]
	v_fma_f64 v[66:67], v[62:63], -0.5, v[68:69]
	v_fma_f64 v[62:63], v[62:63], s[2:3], v[40:41]
	v_add_f64 v[0:1], v[28:29], v[16:17]
	v_add_f64 v[2:3], v[26:27], v[18:19]
	;; [unrolled: 1-line block ×4, first 2 shown]
	v_add_f64 v[4:5], v[28:29], -v[16:17]
	v_add_f64 v[6:7], v[26:27], -v[18:19]
	;; [unrolled: 1-line block ×4, first 2 shown]
	v_add_f64 v[16:17], v[36:37], v[24:25]
	v_add_f64 v[18:19], v[42:43], v[52:53]
	;; [unrolled: 1-line block ×3, first 2 shown]
	v_add_f64 v[24:25], v[36:37], -v[24:25]
	v_add_f64 v[28:29], v[38:39], -v[48:49]
	v_add_f64 v[32:33], v[54:55], v[64:65]
	v_add_f64 v[34:35], v[56:57], v[60:61]
	;; [unrolled: 1-line block ×3, first 2 shown]
	v_add_f64 v[26:27], v[42:43], -v[52:53]
	v_add_f64 v[40:41], v[54:55], -v[64:65]
	v_add_f64 v[36:37], v[46:47], v[66:67]
	v_add_f64 v[38:39], v[58:59], v[62:63]
	v_add_f64 v[42:43], v[56:57], -v[60:61]
	v_add_f64 v[30:31], v[44:45], -v[50:51]
	;; [unrolled: 1-line block ×4, first 2 shown]
	ds_store_b128 v188, v[0:3]
	ds_store_b128 v188, v[8:11] offset:1904
	ds_store_b128 v188, v[4:7] offset:11424
	;; [unrolled: 1-line block ×11, first 2 shown]
	s_waitcnt lgkmcnt(0)
	s_barrier
	buffer_gl0_inv
	s_and_b32 exec_lo, exec_lo, vcc_lo
	s_cbranch_execz .LBB0_23
; %bb.22:
	global_load_b128 v[0:3], v255, s[12:13]
	ds_load_b128 v[4:7], v188
	ds_load_b128 v[8:11], v255 offset:1344
	ds_load_b128 v[12:15], v255 offset:21504
	s_mov_b32 s0, 0x16f26017
	s_mov_b32 s1, 0x3f46f260
	s_mul_i32 s2, s5, 0x540
	s_mul_hi_u32 s3, s4, 0x540
	s_delay_alu instid0(SALU_CYCLE_1) | instskip(SKIP_1) | instid1(VALU_DEP_1)
	s_add_i32 s3, s3, s2
	v_add_co_u32 v22, s2, s12, v255
	v_add_co_ci_u32_e64 v23, null, s13, 0, s2
	s_waitcnt vmcnt(0) lgkmcnt(2)
	v_mul_f64 v[16:17], v[6:7], v[2:3]
	v_mul_f64 v[2:3], v[4:5], v[2:3]
	s_delay_alu instid0(VALU_DEP_2) | instskip(NEXT) | instid1(VALU_DEP_2)
	v_fma_f64 v[4:5], v[4:5], v[0:1], v[16:17]
	v_fma_f64 v[2:3], v[0:1], v[6:7], -v[2:3]
	scratch_load_b64 v[0:1], off, off       ; 8-byte Folded Reload
	v_mad_u64_u32 v[16:17], null, s4, v76, 0
	s_mulk_i32 s4, 0x540
	v_mul_f64 v[2:3], v[2:3], s[0:1]
	s_waitcnt vmcnt(0)
	v_mov_b32_e32 v19, v0
	v_mul_f64 v[0:1], v[4:5], s[0:1]
	s_delay_alu instid0(VALU_DEP_4) | instskip(NEXT) | instid1(VALU_DEP_3)
	v_mov_b32_e32 v5, v17
	v_mad_u64_u32 v[6:7], null, s6, v19, 0
	s_delay_alu instid0(VALU_DEP_1) | instskip(NEXT) | instid1(VALU_DEP_1)
	v_mov_b32_e32 v4, v7
	v_mad_u64_u32 v[17:18], null, s7, v19, v[4:5]
	s_delay_alu instid0(VALU_DEP_3) | instskip(NEXT) | instid1(VALU_DEP_2)
	v_mad_u64_u32 v[18:19], null, s5, v76, v[5:6]
	v_mov_b32_e32 v7, v17
	s_delay_alu instid0(VALU_DEP_2) | instskip(NEXT) | instid1(VALU_DEP_2)
	v_mov_b32_e32 v17, v18
	v_lshlrev_b64 v[4:5], 4, v[6:7]
	s_delay_alu instid0(VALU_DEP_2) | instskip(NEXT) | instid1(VALU_DEP_2)
	v_lshlrev_b64 v[6:7], 4, v[16:17]
	v_add_co_u32 v4, vcc_lo, s14, v4
	s_delay_alu instid0(VALU_DEP_3) | instskip(NEXT) | instid1(VALU_DEP_2)
	v_add_co_ci_u32_e32 v5, vcc_lo, s15, v5, vcc_lo
	v_add_co_u32 v4, vcc_lo, v4, v6
	s_delay_alu instid0(VALU_DEP_2) | instskip(NEXT) | instid1(VALU_DEP_2)
	v_add_co_ci_u32_e32 v5, vcc_lo, v5, v7, vcc_lo
	v_add_co_u32 v16, vcc_lo, v4, s4
	global_store_b128 v[4:5], v[0:3], off
	global_load_b128 v[0:3], v255, s[12:13] offset:1344
	v_add_co_ci_u32_e32 v17, vcc_lo, s3, v5, vcc_lo
	s_waitcnt vmcnt(0) lgkmcnt(1)
	v_mul_f64 v[6:7], v[10:11], v[2:3]
	v_mul_f64 v[2:3], v[8:9], v[2:3]
	s_delay_alu instid0(VALU_DEP_2) | instskip(NEXT) | instid1(VALU_DEP_2)
	v_fma_f64 v[6:7], v[8:9], v[0:1], v[6:7]
	v_fma_f64 v[2:3], v[0:1], v[10:11], -v[2:3]
	s_delay_alu instid0(VALU_DEP_2) | instskip(NEXT) | instid1(VALU_DEP_2)
	v_mul_f64 v[0:1], v[6:7], s[0:1]
	v_mul_f64 v[2:3], v[2:3], s[0:1]
	global_store_b128 v[16:17], v[0:3], off
	global_load_b128 v[0:3], v255, s[12:13] offset:2688
	ds_load_b128 v[4:7], v255 offset:2688
	ds_load_b128 v[8:11], v255 offset:4032
	s_waitcnt vmcnt(0) lgkmcnt(1)
	v_mul_f64 v[18:19], v[6:7], v[2:3]
	v_mul_f64 v[2:3], v[4:5], v[2:3]
	s_delay_alu instid0(VALU_DEP_2) | instskip(NEXT) | instid1(VALU_DEP_2)
	v_fma_f64 v[4:5], v[4:5], v[0:1], v[18:19]
	v_fma_f64 v[2:3], v[0:1], v[6:7], -v[2:3]
	s_delay_alu instid0(VALU_DEP_2) | instskip(NEXT) | instid1(VALU_DEP_2)
	v_mul_f64 v[0:1], v[4:5], s[0:1]
	v_mul_f64 v[2:3], v[2:3], s[0:1]
	v_add_co_u32 v4, vcc_lo, v16, s4
	v_add_co_ci_u32_e32 v5, vcc_lo, s3, v17, vcc_lo
	s_delay_alu instid0(VALU_DEP_2) | instskip(NEXT) | instid1(VALU_DEP_2)
	v_add_co_u32 v16, vcc_lo, v4, s4
	v_add_co_ci_u32_e32 v17, vcc_lo, s3, v5, vcc_lo
	v_add_co_u32 v18, vcc_lo, 0x1000, v22
	v_add_co_ci_u32_e32 v19, vcc_lo, 0, v23, vcc_lo
	global_store_b128 v[4:5], v[0:3], off
	global_load_b128 v[0:3], v255, s[12:13] offset:4032
	s_waitcnt vmcnt(0) lgkmcnt(0)
	v_mul_f64 v[6:7], v[10:11], v[2:3]
	v_mul_f64 v[2:3], v[8:9], v[2:3]
	s_delay_alu instid0(VALU_DEP_2) | instskip(NEXT) | instid1(VALU_DEP_2)
	v_fma_f64 v[6:7], v[8:9], v[0:1], v[6:7]
	v_fma_f64 v[2:3], v[0:1], v[10:11], -v[2:3]
	s_delay_alu instid0(VALU_DEP_2) | instskip(NEXT) | instid1(VALU_DEP_2)
	v_mul_f64 v[0:1], v[6:7], s[0:1]
	v_mul_f64 v[2:3], v[2:3], s[0:1]
	global_store_b128 v[16:17], v[0:3], off
	global_load_b128 v[0:3], v[18:19], off offset:1280
	ds_load_b128 v[4:7], v255 offset:5376
	ds_load_b128 v[8:11], v255 offset:6720
	s_waitcnt vmcnt(0) lgkmcnt(1)
	v_mul_f64 v[20:21], v[6:7], v[2:3]
	v_mul_f64 v[2:3], v[4:5], v[2:3]
	s_delay_alu instid0(VALU_DEP_2) | instskip(NEXT) | instid1(VALU_DEP_2)
	v_fma_f64 v[4:5], v[4:5], v[0:1], v[20:21]
	v_fma_f64 v[2:3], v[0:1], v[6:7], -v[2:3]
	s_delay_alu instid0(VALU_DEP_2) | instskip(NEXT) | instid1(VALU_DEP_2)
	v_mul_f64 v[0:1], v[4:5], s[0:1]
	v_mul_f64 v[2:3], v[2:3], s[0:1]
	v_add_co_u32 v4, vcc_lo, v16, s4
	v_add_co_ci_u32_e32 v5, vcc_lo, s3, v17, vcc_lo
	s_delay_alu instid0(VALU_DEP_2) | instskip(NEXT) | instid1(VALU_DEP_2)
	v_add_co_u32 v16, vcc_lo, v4, s4
	v_add_co_ci_u32_e32 v17, vcc_lo, s3, v5, vcc_lo
	global_store_b128 v[4:5], v[0:3], off
	global_load_b128 v[0:3], v[18:19], off offset:2624
	s_waitcnt vmcnt(0) lgkmcnt(0)
	v_mul_f64 v[6:7], v[10:11], v[2:3]
	v_mul_f64 v[2:3], v[8:9], v[2:3]
	s_delay_alu instid0(VALU_DEP_2) | instskip(NEXT) | instid1(VALU_DEP_2)
	v_fma_f64 v[6:7], v[8:9], v[0:1], v[6:7]
	v_fma_f64 v[2:3], v[0:1], v[10:11], -v[2:3]
	s_delay_alu instid0(VALU_DEP_2) | instskip(NEXT) | instid1(VALU_DEP_2)
	v_mul_f64 v[0:1], v[6:7], s[0:1]
	v_mul_f64 v[2:3], v[2:3], s[0:1]
	global_store_b128 v[16:17], v[0:3], off
	global_load_b128 v[0:3], v[18:19], off offset:3968
	ds_load_b128 v[4:7], v255 offset:8064
	ds_load_b128 v[8:11], v255 offset:9408
	s_waitcnt vmcnt(0) lgkmcnt(1)
	v_mul_f64 v[18:19], v[6:7], v[2:3]
	v_mul_f64 v[2:3], v[4:5], v[2:3]
	s_delay_alu instid0(VALU_DEP_2) | instskip(NEXT) | instid1(VALU_DEP_2)
	v_fma_f64 v[4:5], v[4:5], v[0:1], v[18:19]
	v_fma_f64 v[2:3], v[0:1], v[6:7], -v[2:3]
	s_delay_alu instid0(VALU_DEP_2) | instskip(NEXT) | instid1(VALU_DEP_2)
	v_mul_f64 v[0:1], v[4:5], s[0:1]
	v_mul_f64 v[2:3], v[2:3], s[0:1]
	v_add_co_u32 v4, vcc_lo, v16, s4
	v_add_co_ci_u32_e32 v5, vcc_lo, s3, v17, vcc_lo
	v_add_co_u32 v16, vcc_lo, 0x2000, v22
	v_add_co_ci_u32_e32 v17, vcc_lo, 0, v23, vcc_lo
	s_delay_alu instid0(VALU_DEP_4) | instskip(NEXT) | instid1(VALU_DEP_4)
	v_add_co_u32 v18, vcc_lo, v4, s4
	v_add_co_ci_u32_e32 v19, vcc_lo, s3, v5, vcc_lo
	global_store_b128 v[4:5], v[0:3], off
	global_load_b128 v[0:3], v[16:17], off offset:1216
	s_waitcnt vmcnt(0) lgkmcnt(0)
	v_mul_f64 v[6:7], v[10:11], v[2:3]
	v_mul_f64 v[2:3], v[8:9], v[2:3]
	s_delay_alu instid0(VALU_DEP_2) | instskip(NEXT) | instid1(VALU_DEP_2)
	v_fma_f64 v[6:7], v[8:9], v[0:1], v[6:7]
	v_fma_f64 v[2:3], v[0:1], v[10:11], -v[2:3]
	s_delay_alu instid0(VALU_DEP_2) | instskip(NEXT) | instid1(VALU_DEP_2)
	v_mul_f64 v[0:1], v[6:7], s[0:1]
	v_mul_f64 v[2:3], v[2:3], s[0:1]
	global_store_b128 v[18:19], v[0:3], off
	global_load_b128 v[0:3], v[16:17], off offset:2560
	ds_load_b128 v[4:7], v255 offset:10752
	ds_load_b128 v[8:11], v255 offset:12096
	s_waitcnt vmcnt(0) lgkmcnt(1)
	v_mul_f64 v[20:21], v[6:7], v[2:3]
	v_mul_f64 v[2:3], v[4:5], v[2:3]
	s_delay_alu instid0(VALU_DEP_2) | instskip(NEXT) | instid1(VALU_DEP_2)
	v_fma_f64 v[4:5], v[4:5], v[0:1], v[20:21]
	v_fma_f64 v[2:3], v[0:1], v[6:7], -v[2:3]
	s_delay_alu instid0(VALU_DEP_2) | instskip(NEXT) | instid1(VALU_DEP_2)
	v_mul_f64 v[0:1], v[4:5], s[0:1]
	v_mul_f64 v[2:3], v[2:3], s[0:1]
	v_add_co_u32 v4, vcc_lo, v18, s4
	v_add_co_ci_u32_e32 v5, vcc_lo, s3, v19, vcc_lo
	global_store_b128 v[4:5], v[0:3], off
	global_load_b128 v[0:3], v[16:17], off offset:3904
	v_add_co_u32 v16, vcc_lo, v4, s4
	v_add_co_ci_u32_e32 v17, vcc_lo, s3, v5, vcc_lo
	v_add_co_u32 v18, vcc_lo, 0x3000, v22
	v_add_co_ci_u32_e32 v19, vcc_lo, 0, v23, vcc_lo
	s_waitcnt vmcnt(0) lgkmcnt(0)
	v_mul_f64 v[6:7], v[10:11], v[2:3]
	v_mul_f64 v[2:3], v[8:9], v[2:3]
	s_delay_alu instid0(VALU_DEP_2) | instskip(NEXT) | instid1(VALU_DEP_2)
	v_fma_f64 v[6:7], v[8:9], v[0:1], v[6:7]
	v_fma_f64 v[2:3], v[0:1], v[10:11], -v[2:3]
	s_delay_alu instid0(VALU_DEP_2) | instskip(NEXT) | instid1(VALU_DEP_2)
	v_mul_f64 v[0:1], v[6:7], s[0:1]
	v_mul_f64 v[2:3], v[2:3], s[0:1]
	global_store_b128 v[16:17], v[0:3], off
	global_load_b128 v[0:3], v[18:19], off offset:1152
	ds_load_b128 v[4:7], v255 offset:13440
	ds_load_b128 v[8:11], v255 offset:14784
	s_waitcnt vmcnt(0) lgkmcnt(1)
	v_mul_f64 v[20:21], v[6:7], v[2:3]
	v_mul_f64 v[2:3], v[4:5], v[2:3]
	s_delay_alu instid0(VALU_DEP_2) | instskip(NEXT) | instid1(VALU_DEP_2)
	v_fma_f64 v[4:5], v[4:5], v[0:1], v[20:21]
	v_fma_f64 v[2:3], v[0:1], v[6:7], -v[2:3]
	s_delay_alu instid0(VALU_DEP_2) | instskip(NEXT) | instid1(VALU_DEP_2)
	v_mul_f64 v[0:1], v[4:5], s[0:1]
	v_mul_f64 v[2:3], v[2:3], s[0:1]
	v_add_co_u32 v4, vcc_lo, v16, s4
	v_add_co_ci_u32_e32 v5, vcc_lo, s3, v17, vcc_lo
	s_delay_alu instid0(VALU_DEP_2) | instskip(NEXT) | instid1(VALU_DEP_2)
	v_add_co_u32 v16, vcc_lo, v4, s4
	v_add_co_ci_u32_e32 v17, vcc_lo, s3, v5, vcc_lo
	global_store_b128 v[4:5], v[0:3], off
	global_load_b128 v[0:3], v[18:19], off offset:2496
	s_waitcnt vmcnt(0) lgkmcnt(0)
	v_mul_f64 v[6:7], v[10:11], v[2:3]
	v_mul_f64 v[2:3], v[8:9], v[2:3]
	s_delay_alu instid0(VALU_DEP_2) | instskip(NEXT) | instid1(VALU_DEP_2)
	v_fma_f64 v[6:7], v[8:9], v[0:1], v[6:7]
	v_fma_f64 v[2:3], v[0:1], v[10:11], -v[2:3]
	s_delay_alu instid0(VALU_DEP_2) | instskip(NEXT) | instid1(VALU_DEP_2)
	v_mul_f64 v[0:1], v[6:7], s[0:1]
	v_mul_f64 v[2:3], v[2:3], s[0:1]
	global_store_b128 v[16:17], v[0:3], off
	global_load_b128 v[0:3], v[18:19], off offset:3840
	ds_load_b128 v[4:7], v255 offset:16128
	ds_load_b128 v[8:11], v255 offset:17472
	s_waitcnt vmcnt(0) lgkmcnt(1)
	v_mul_f64 v[18:19], v[6:7], v[2:3]
	v_mul_f64 v[2:3], v[4:5], v[2:3]
	s_delay_alu instid0(VALU_DEP_2) | instskip(NEXT) | instid1(VALU_DEP_2)
	v_fma_f64 v[4:5], v[4:5], v[0:1], v[18:19]
	v_fma_f64 v[2:3], v[0:1], v[6:7], -v[2:3]
	s_delay_alu instid0(VALU_DEP_2) | instskip(NEXT) | instid1(VALU_DEP_2)
	v_mul_f64 v[0:1], v[4:5], s[0:1]
	v_mul_f64 v[2:3], v[2:3], s[0:1]
	v_add_co_u32 v4, vcc_lo, v16, s4
	v_add_co_ci_u32_e32 v5, vcc_lo, s3, v17, vcc_lo
	v_add_co_u32 v16, vcc_lo, 0x4000, v22
	v_add_co_ci_u32_e32 v17, vcc_lo, 0, v23, vcc_lo
	s_delay_alu instid0(VALU_DEP_4) | instskip(NEXT) | instid1(VALU_DEP_4)
	v_add_co_u32 v18, vcc_lo, v4, s4
	v_add_co_ci_u32_e32 v19, vcc_lo, s3, v5, vcc_lo
	global_store_b128 v[4:5], v[0:3], off
	global_load_b128 v[0:3], v[16:17], off offset:1088
	s_waitcnt vmcnt(0) lgkmcnt(0)
	v_mul_f64 v[6:7], v[10:11], v[2:3]
	v_mul_f64 v[2:3], v[8:9], v[2:3]
	s_delay_alu instid0(VALU_DEP_2) | instskip(NEXT) | instid1(VALU_DEP_2)
	v_fma_f64 v[6:7], v[8:9], v[0:1], v[6:7]
	v_fma_f64 v[2:3], v[0:1], v[10:11], -v[2:3]
	s_delay_alu instid0(VALU_DEP_2) | instskip(NEXT) | instid1(VALU_DEP_2)
	v_mul_f64 v[0:1], v[6:7], s[0:1]
	v_mul_f64 v[2:3], v[2:3], s[0:1]
	global_store_b128 v[18:19], v[0:3], off
	global_load_b128 v[0:3], v[16:17], off offset:2432
	ds_load_b128 v[4:7], v255 offset:18816
	ds_load_b128 v[8:11], v255 offset:20160
	s_waitcnt vmcnt(0) lgkmcnt(1)
	v_mul_f64 v[20:21], v[6:7], v[2:3]
	v_mul_f64 v[2:3], v[4:5], v[2:3]
	s_delay_alu instid0(VALU_DEP_2) | instskip(NEXT) | instid1(VALU_DEP_2)
	v_fma_f64 v[4:5], v[4:5], v[0:1], v[20:21]
	v_fma_f64 v[2:3], v[0:1], v[6:7], -v[2:3]
	s_delay_alu instid0(VALU_DEP_2) | instskip(NEXT) | instid1(VALU_DEP_2)
	v_mul_f64 v[0:1], v[4:5], s[0:1]
	v_mul_f64 v[2:3], v[2:3], s[0:1]
	v_add_co_u32 v4, vcc_lo, v18, s4
	v_add_co_ci_u32_e32 v5, vcc_lo, s3, v19, vcc_lo
	global_store_b128 v[4:5], v[0:3], off
	global_load_b128 v[0:3], v[16:17], off offset:3776
	v_add_co_u32 v4, vcc_lo, v4, s4
	v_add_co_ci_u32_e32 v5, vcc_lo, s3, v5, vcc_lo
	s_waitcnt vmcnt(0) lgkmcnt(0)
	v_mul_f64 v[6:7], v[10:11], v[2:3]
	v_mul_f64 v[2:3], v[8:9], v[2:3]
	s_delay_alu instid0(VALU_DEP_2) | instskip(NEXT) | instid1(VALU_DEP_2)
	v_fma_f64 v[6:7], v[8:9], v[0:1], v[6:7]
	v_fma_f64 v[2:3], v[0:1], v[10:11], -v[2:3]
	s_delay_alu instid0(VALU_DEP_2) | instskip(NEXT) | instid1(VALU_DEP_2)
	v_mul_f64 v[0:1], v[6:7], s[0:1]
	v_mul_f64 v[2:3], v[2:3], s[0:1]
	v_add_co_u32 v6, vcc_lo, 0x5000, v22
	v_add_co_ci_u32_e32 v7, vcc_lo, 0, v23, vcc_lo
	global_store_b128 v[4:5], v[0:3], off
	global_load_b128 v[0:3], v[6:7], off offset:1024
	v_add_co_u32 v4, vcc_lo, v4, s4
	v_add_co_ci_u32_e32 v5, vcc_lo, s3, v5, vcc_lo
	s_waitcnt vmcnt(0)
	v_mul_f64 v[6:7], v[14:15], v[2:3]
	v_mul_f64 v[2:3], v[12:13], v[2:3]
	s_delay_alu instid0(VALU_DEP_2) | instskip(NEXT) | instid1(VALU_DEP_2)
	v_fma_f64 v[6:7], v[12:13], v[0:1], v[6:7]
	v_fma_f64 v[2:3], v[0:1], v[14:15], -v[2:3]
	s_delay_alu instid0(VALU_DEP_2) | instskip(NEXT) | instid1(VALU_DEP_2)
	v_mul_f64 v[0:1], v[6:7], s[0:1]
	v_mul_f64 v[2:3], v[2:3], s[0:1]
	global_store_b128 v[4:5], v[0:3], off
.LBB0_23:
	s_endpgm
	.section	.rodata,"a",@progbits
	.p2align	6, 0x0
	.amdhsa_kernel bluestein_single_back_len1428_dim1_dp_op_CI_CI
		.amdhsa_group_segment_fixed_size 22848
		.amdhsa_private_segment_fixed_size 580
		.amdhsa_kernarg_size 104
		.amdhsa_user_sgpr_count 15
		.amdhsa_user_sgpr_dispatch_ptr 0
		.amdhsa_user_sgpr_queue_ptr 0
		.amdhsa_user_sgpr_kernarg_segment_ptr 1
		.amdhsa_user_sgpr_dispatch_id 0
		.amdhsa_user_sgpr_private_segment_size 0
		.amdhsa_wavefront_size32 1
		.amdhsa_uses_dynamic_stack 0
		.amdhsa_enable_private_segment 1
		.amdhsa_system_sgpr_workgroup_id_x 1
		.amdhsa_system_sgpr_workgroup_id_y 0
		.amdhsa_system_sgpr_workgroup_id_z 0
		.amdhsa_system_sgpr_workgroup_info 0
		.amdhsa_system_vgpr_workitem_id 0
		.amdhsa_next_free_vgpr 256
		.amdhsa_next_free_sgpr 60
		.amdhsa_reserve_vcc 1
		.amdhsa_float_round_mode_32 0
		.amdhsa_float_round_mode_16_64 0
		.amdhsa_float_denorm_mode_32 3
		.amdhsa_float_denorm_mode_16_64 3
		.amdhsa_dx10_clamp 1
		.amdhsa_ieee_mode 1
		.amdhsa_fp16_overflow 0
		.amdhsa_workgroup_processor_mode 1
		.amdhsa_memory_ordered 1
		.amdhsa_forward_progress 0
		.amdhsa_shared_vgpr_count 0
		.amdhsa_exception_fp_ieee_invalid_op 0
		.amdhsa_exception_fp_denorm_src 0
		.amdhsa_exception_fp_ieee_div_zero 0
		.amdhsa_exception_fp_ieee_overflow 0
		.amdhsa_exception_fp_ieee_underflow 0
		.amdhsa_exception_fp_ieee_inexact 0
		.amdhsa_exception_int_div_zero 0
	.end_amdhsa_kernel
	.text
.Lfunc_end0:
	.size	bluestein_single_back_len1428_dim1_dp_op_CI_CI, .Lfunc_end0-bluestein_single_back_len1428_dim1_dp_op_CI_CI
                                        ; -- End function
	.section	.AMDGPU.csdata,"",@progbits
; Kernel info:
; codeLenInByte = 31456
; NumSgprs: 62
; NumVgprs: 256
; ScratchSize: 580
; MemoryBound: 0
; FloatMode: 240
; IeeeMode: 1
; LDSByteSize: 22848 bytes/workgroup (compile time only)
; SGPRBlocks: 7
; VGPRBlocks: 31
; NumSGPRsForWavesPerEU: 62
; NumVGPRsForWavesPerEU: 256
; Occupancy: 5
; WaveLimiterHint : 1
; COMPUTE_PGM_RSRC2:SCRATCH_EN: 1
; COMPUTE_PGM_RSRC2:USER_SGPR: 15
; COMPUTE_PGM_RSRC2:TRAP_HANDLER: 0
; COMPUTE_PGM_RSRC2:TGID_X_EN: 1
; COMPUTE_PGM_RSRC2:TGID_Y_EN: 0
; COMPUTE_PGM_RSRC2:TGID_Z_EN: 0
; COMPUTE_PGM_RSRC2:TIDIG_COMP_CNT: 0
	.text
	.p2alignl 7, 3214868480
	.fill 96, 4, 3214868480
	.type	__hip_cuid_d6982e829260fe11,@object ; @__hip_cuid_d6982e829260fe11
	.section	.bss,"aw",@nobits
	.globl	__hip_cuid_d6982e829260fe11
__hip_cuid_d6982e829260fe11:
	.byte	0                               ; 0x0
	.size	__hip_cuid_d6982e829260fe11, 1

	.ident	"AMD clang version 19.0.0git (https://github.com/RadeonOpenCompute/llvm-project roc-6.4.0 25133 c7fe45cf4b819c5991fe208aaa96edf142730f1d)"
	.section	".note.GNU-stack","",@progbits
	.addrsig
	.addrsig_sym __hip_cuid_d6982e829260fe11
	.amdgpu_metadata
---
amdhsa.kernels:
  - .args:
      - .actual_access:  read_only
        .address_space:  global
        .offset:         0
        .size:           8
        .value_kind:     global_buffer
      - .actual_access:  read_only
        .address_space:  global
        .offset:         8
        .size:           8
        .value_kind:     global_buffer
      - .actual_access:  read_only
        .address_space:  global
        .offset:         16
        .size:           8
        .value_kind:     global_buffer
      - .actual_access:  read_only
        .address_space:  global
        .offset:         24
        .size:           8
        .value_kind:     global_buffer
      - .actual_access:  read_only
        .address_space:  global
        .offset:         32
        .size:           8
        .value_kind:     global_buffer
      - .offset:         40
        .size:           8
        .value_kind:     by_value
      - .address_space:  global
        .offset:         48
        .size:           8
        .value_kind:     global_buffer
      - .address_space:  global
        .offset:         56
        .size:           8
        .value_kind:     global_buffer
      - .address_space:  global
        .offset:         64
        .size:           8
        .value_kind:     global_buffer
      - .address_space:  global
        .offset:         72
        .size:           8
        .value_kind:     global_buffer
      - .offset:         80
        .size:           4
        .value_kind:     by_value
      - .address_space:  global
        .offset:         88
        .size:           8
        .value_kind:     global_buffer
      - .address_space:  global
        .offset:         96
        .size:           8
        .value_kind:     global_buffer
    .group_segment_fixed_size: 22848
    .kernarg_segment_align: 8
    .kernarg_segment_size: 104
    .language:       OpenCL C
    .language_version:
      - 2
      - 0
    .max_flat_workgroup_size: 119
    .name:           bluestein_single_back_len1428_dim1_dp_op_CI_CI
    .private_segment_fixed_size: 580
    .sgpr_count:     62
    .sgpr_spill_count: 0
    .symbol:         bluestein_single_back_len1428_dim1_dp_op_CI_CI.kd
    .uniform_work_group_size: 1
    .uses_dynamic_stack: false
    .vgpr_count:     256
    .vgpr_spill_count: 199
    .wavefront_size: 32
    .workgroup_processor_mode: 1
amdhsa.target:   amdgcn-amd-amdhsa--gfx1100
amdhsa.version:
  - 1
  - 2
...

	.end_amdgpu_metadata
